;; amdgpu-corpus repo=ROCm/rocPRIM kind=compiled arch=gfx1100 opt=O3
	.text
	.amdgcn_target "amdgcn-amd-amdhsa--gfx1100"
	.amdhsa_code_object_version 6
	.section	.text._Z6kernelI14inclusive_scaniLj64ELj100EEvPKT0_PS1_S1_,"axG",@progbits,_Z6kernelI14inclusive_scaniLj64ELj100EEvPKT0_PS1_S1_,comdat
	.protected	_Z6kernelI14inclusive_scaniLj64ELj100EEvPKT0_PS1_S1_ ; -- Begin function _Z6kernelI14inclusive_scaniLj64ELj100EEvPKT0_PS1_S1_
	.globl	_Z6kernelI14inclusive_scaniLj64ELj100EEvPKT0_PS1_S1_
	.p2align	8
	.type	_Z6kernelI14inclusive_scaniLj64ELj100EEvPKT0_PS1_S1_,@function
_Z6kernelI14inclusive_scaniLj64ELj100EEvPKT0_PS1_S1_: ; @_Z6kernelI14inclusive_scaniLj64ELj100EEvPKT0_PS1_S1_
; %bb.0:
	s_clause 0x1
	s_load_b32 s4, s[0:1], 0x24
	s_load_b128 s[0:3], s[0:1], 0x0
	s_waitcnt lgkmcnt(0)
	s_and_b32 s4, s4, 0xffff
	s_delay_alu instid0(SALU_CYCLE_1) | instskip(SKIP_1) | instid1(VALU_DEP_1)
	v_mad_u64_u32 v[1:2], null, s15, s4, v[0:1]
	v_mov_b32_e32 v2, 0
	v_lshlrev_b64 v[0:1], 2, v[1:2]
	s_delay_alu instid0(VALU_DEP_1) | instskip(NEXT) | instid1(VALU_DEP_2)
	v_add_co_u32 v2, vcc_lo, s0, v0
	v_add_co_ci_u32_e32 v3, vcc_lo, s1, v1, vcc_lo
	v_add_co_u32 v0, vcc_lo, s2, v0
	v_add_co_ci_u32_e32 v1, vcc_lo, s3, v1, vcc_lo
	global_load_b32 v2, v[2:3], off
	s_waitcnt vmcnt(0)
	global_store_b32 v[0:1], v2, off
	s_nop 0
	s_sendmsg sendmsg(MSG_DEALLOC_VGPRS)
	s_endpgm
	.section	.rodata,"a",@progbits
	.p2align	6, 0x0
	.amdhsa_kernel _Z6kernelI14inclusive_scaniLj64ELj100EEvPKT0_PS1_S1_
		.amdhsa_group_segment_fixed_size 0
		.amdhsa_private_segment_fixed_size 0
		.amdhsa_kernarg_size 280
		.amdhsa_user_sgpr_count 15
		.amdhsa_user_sgpr_dispatch_ptr 0
		.amdhsa_user_sgpr_queue_ptr 0
		.amdhsa_user_sgpr_kernarg_segment_ptr 1
		.amdhsa_user_sgpr_dispatch_id 0
		.amdhsa_user_sgpr_private_segment_size 0
		.amdhsa_wavefront_size32 1
		.amdhsa_uses_dynamic_stack 0
		.amdhsa_enable_private_segment 0
		.amdhsa_system_sgpr_workgroup_id_x 1
		.amdhsa_system_sgpr_workgroup_id_y 0
		.amdhsa_system_sgpr_workgroup_id_z 0
		.amdhsa_system_sgpr_workgroup_info 0
		.amdhsa_system_vgpr_workitem_id 0
		.amdhsa_next_free_vgpr 4
		.amdhsa_next_free_sgpr 16
		.amdhsa_reserve_vcc 1
		.amdhsa_float_round_mode_32 0
		.amdhsa_float_round_mode_16_64 0
		.amdhsa_float_denorm_mode_32 3
		.amdhsa_float_denorm_mode_16_64 3
		.amdhsa_dx10_clamp 1
		.amdhsa_ieee_mode 1
		.amdhsa_fp16_overflow 0
		.amdhsa_workgroup_processor_mode 1
		.amdhsa_memory_ordered 1
		.amdhsa_forward_progress 0
		.amdhsa_shared_vgpr_count 0
		.amdhsa_exception_fp_ieee_invalid_op 0
		.amdhsa_exception_fp_denorm_src 0
		.amdhsa_exception_fp_ieee_div_zero 0
		.amdhsa_exception_fp_ieee_overflow 0
		.amdhsa_exception_fp_ieee_underflow 0
		.amdhsa_exception_fp_ieee_inexact 0
		.amdhsa_exception_int_div_zero 0
	.end_amdhsa_kernel
	.section	.text._Z6kernelI14inclusive_scaniLj64ELj100EEvPKT0_PS1_S1_,"axG",@progbits,_Z6kernelI14inclusive_scaniLj64ELj100EEvPKT0_PS1_S1_,comdat
.Lfunc_end0:
	.size	_Z6kernelI14inclusive_scaniLj64ELj100EEvPKT0_PS1_S1_, .Lfunc_end0-_Z6kernelI14inclusive_scaniLj64ELj100EEvPKT0_PS1_S1_
                                        ; -- End function
	.section	.AMDGPU.csdata,"",@progbits
; Kernel info:
; codeLenInByte = 116
; NumSgprs: 18
; NumVgprs: 4
; ScratchSize: 0
; MemoryBound: 0
; FloatMode: 240
; IeeeMode: 1
; LDSByteSize: 0 bytes/workgroup (compile time only)
; SGPRBlocks: 2
; VGPRBlocks: 0
; NumSGPRsForWavesPerEU: 18
; NumVGPRsForWavesPerEU: 4
; Occupancy: 16
; WaveLimiterHint : 0
; COMPUTE_PGM_RSRC2:SCRATCH_EN: 0
; COMPUTE_PGM_RSRC2:USER_SGPR: 15
; COMPUTE_PGM_RSRC2:TRAP_HANDLER: 0
; COMPUTE_PGM_RSRC2:TGID_X_EN: 1
; COMPUTE_PGM_RSRC2:TGID_Y_EN: 0
; COMPUTE_PGM_RSRC2:TGID_Z_EN: 0
; COMPUTE_PGM_RSRC2:TIDIG_COMP_CNT: 0
	.section	.text._Z6kernelI14inclusive_scaniLj32ELj100EEvPKT0_PS1_S1_,"axG",@progbits,_Z6kernelI14inclusive_scaniLj32ELj100EEvPKT0_PS1_S1_,comdat
	.protected	_Z6kernelI14inclusive_scaniLj32ELj100EEvPKT0_PS1_S1_ ; -- Begin function _Z6kernelI14inclusive_scaniLj32ELj100EEvPKT0_PS1_S1_
	.globl	_Z6kernelI14inclusive_scaniLj32ELj100EEvPKT0_PS1_S1_
	.p2align	8
	.type	_Z6kernelI14inclusive_scaniLj32ELj100EEvPKT0_PS1_S1_,@function
_Z6kernelI14inclusive_scaniLj32ELj100EEvPKT0_PS1_S1_: ; @_Z6kernelI14inclusive_scaniLj32ELj100EEvPKT0_PS1_S1_
; %bb.0:
	s_clause 0x1
	s_load_b32 s2, s[0:1], 0x24
	s_load_b128 s[4:7], s[0:1], 0x0
	s_waitcnt lgkmcnt(0)
	s_and_b32 s0, s2, 0xffff
	s_delay_alu instid0(SALU_CYCLE_1) | instskip(SKIP_1) | instid1(VALU_DEP_1)
	v_mad_u64_u32 v[1:2], null, s15, s0, v[0:1]
	v_mov_b32_e32 v2, 0
	v_lshlrev_b64 v[0:1], 2, v[1:2]
	s_delay_alu instid0(VALU_DEP_1) | instskip(NEXT) | instid1(VALU_DEP_2)
	v_add_co_u32 v2, vcc_lo, s4, v0
	v_add_co_ci_u32_e32 v3, vcc_lo, s5, v1, vcc_lo
	s_movk_i32 s4, 0x64
	global_load_b32 v2, v[2:3], off
	v_mbcnt_lo_u32_b32 v3, -1, 0
	s_delay_alu instid0(VALU_DEP_1) | instskip(SKIP_1) | instid1(VALU_DEP_2)
	v_and_b32_e32 v4, 15, v3
	v_and_b32_e32 v3, 16, v3
	v_cmp_eq_u32_e32 vcc_lo, 0, v4
	v_cmp_lt_u32_e64 s0, 1, v4
	v_cmp_lt_u32_e64 s1, 3, v4
	;; [unrolled: 1-line block ×3, first 2 shown]
	v_cmp_eq_u32_e64 s3, 0, v3
	.p2align	6
.LBB1_1:                                ; =>This Inner Loop Header: Depth=1
	s_waitcnt vmcnt(0)
	s_delay_alu instid0(VALU_DEP_1) | instskip(SKIP_1) | instid1(SALU_CYCLE_1)
	v_mov_b32_dpp v3, v2 row_shr:1 row_mask:0xf bank_mask:0xf
	s_add_i32 s4, s4, -1
	s_cmp_lg_u32 s4, 0
	s_delay_alu instid0(VALU_DEP_1) | instskip(NEXT) | instid1(VALU_DEP_1)
	v_cndmask_b32_e64 v3, v3, 0, vcc_lo
	v_add_nc_u32_e32 v2, v3, v2
	s_delay_alu instid0(VALU_DEP_1) | instskip(NEXT) | instid1(VALU_DEP_1)
	v_mov_b32_dpp v3, v2 row_shr:2 row_mask:0xf bank_mask:0xf
	v_cndmask_b32_e64 v3, 0, v3, s0
	s_delay_alu instid0(VALU_DEP_1) | instskip(NEXT) | instid1(VALU_DEP_1)
	v_add_nc_u32_e32 v2, v2, v3
	v_mov_b32_dpp v3, v2 row_shr:4 row_mask:0xf bank_mask:0xf
	s_delay_alu instid0(VALU_DEP_1) | instskip(NEXT) | instid1(VALU_DEP_1)
	v_cndmask_b32_e64 v3, 0, v3, s1
	v_add_nc_u32_e32 v2, v2, v3
	s_delay_alu instid0(VALU_DEP_1) | instskip(NEXT) | instid1(VALU_DEP_1)
	v_mov_b32_dpp v3, v2 row_shr:8 row_mask:0xf bank_mask:0xf
	v_cndmask_b32_e64 v3, 0, v3, s2
	s_delay_alu instid0(VALU_DEP_1) | instskip(SKIP_3) | instid1(VALU_DEP_1)
	v_add_nc_u32_e32 v2, v2, v3
	ds_swizzle_b32 v3, v2 offset:swizzle(BROADCAST,32,15)
	s_waitcnt lgkmcnt(0)
	v_cndmask_b32_e64 v3, v3, 0, s3
	v_add_nc_u32_e32 v2, v2, v3
	s_cbranch_scc1 .LBB1_1
; %bb.2:
	v_add_co_u32 v0, vcc_lo, s6, v0
	v_add_co_ci_u32_e32 v1, vcc_lo, s7, v1, vcc_lo
	global_store_b32 v[0:1], v2, off
	s_nop 0
	s_sendmsg sendmsg(MSG_DEALLOC_VGPRS)
	s_endpgm
	.section	.rodata,"a",@progbits
	.p2align	6, 0x0
	.amdhsa_kernel _Z6kernelI14inclusive_scaniLj32ELj100EEvPKT0_PS1_S1_
		.amdhsa_group_segment_fixed_size 0
		.amdhsa_private_segment_fixed_size 0
		.amdhsa_kernarg_size 280
		.amdhsa_user_sgpr_count 15
		.amdhsa_user_sgpr_dispatch_ptr 0
		.amdhsa_user_sgpr_queue_ptr 0
		.amdhsa_user_sgpr_kernarg_segment_ptr 1
		.amdhsa_user_sgpr_dispatch_id 0
		.amdhsa_user_sgpr_private_segment_size 0
		.amdhsa_wavefront_size32 1
		.amdhsa_uses_dynamic_stack 0
		.amdhsa_enable_private_segment 0
		.amdhsa_system_sgpr_workgroup_id_x 1
		.amdhsa_system_sgpr_workgroup_id_y 0
		.amdhsa_system_sgpr_workgroup_id_z 0
		.amdhsa_system_sgpr_workgroup_info 0
		.amdhsa_system_vgpr_workitem_id 0
		.amdhsa_next_free_vgpr 5
		.amdhsa_next_free_sgpr 16
		.amdhsa_reserve_vcc 1
		.amdhsa_float_round_mode_32 0
		.amdhsa_float_round_mode_16_64 0
		.amdhsa_float_denorm_mode_32 3
		.amdhsa_float_denorm_mode_16_64 3
		.amdhsa_dx10_clamp 1
		.amdhsa_ieee_mode 1
		.amdhsa_fp16_overflow 0
		.amdhsa_workgroup_processor_mode 1
		.amdhsa_memory_ordered 1
		.amdhsa_forward_progress 0
		.amdhsa_shared_vgpr_count 0
		.amdhsa_exception_fp_ieee_invalid_op 0
		.amdhsa_exception_fp_denorm_src 0
		.amdhsa_exception_fp_ieee_div_zero 0
		.amdhsa_exception_fp_ieee_overflow 0
		.amdhsa_exception_fp_ieee_underflow 0
		.amdhsa_exception_fp_ieee_inexact 0
		.amdhsa_exception_int_div_zero 0
	.end_amdhsa_kernel
	.section	.text._Z6kernelI14inclusive_scaniLj32ELj100EEvPKT0_PS1_S1_,"axG",@progbits,_Z6kernelI14inclusive_scaniLj32ELj100EEvPKT0_PS1_S1_,comdat
.Lfunc_end1:
	.size	_Z6kernelI14inclusive_scaniLj32ELj100EEvPKT0_PS1_S1_, .Lfunc_end1-_Z6kernelI14inclusive_scaniLj32ELj100EEvPKT0_PS1_S1_
                                        ; -- End function
	.section	.AMDGPU.csdata,"",@progbits
; Kernel info:
; codeLenInByte = 320
; NumSgprs: 18
; NumVgprs: 5
; ScratchSize: 0
; MemoryBound: 0
; FloatMode: 240
; IeeeMode: 1
; LDSByteSize: 0 bytes/workgroup (compile time only)
; SGPRBlocks: 2
; VGPRBlocks: 0
; NumSGPRsForWavesPerEU: 18
; NumVGPRsForWavesPerEU: 5
; Occupancy: 16
; WaveLimiterHint : 0
; COMPUTE_PGM_RSRC2:SCRATCH_EN: 0
; COMPUTE_PGM_RSRC2:USER_SGPR: 15
; COMPUTE_PGM_RSRC2:TRAP_HANDLER: 0
; COMPUTE_PGM_RSRC2:TGID_X_EN: 1
; COMPUTE_PGM_RSRC2:TGID_Y_EN: 0
; COMPUTE_PGM_RSRC2:TGID_Z_EN: 0
; COMPUTE_PGM_RSRC2:TIDIG_COMP_CNT: 0
	.section	.text._Z6kernelI14inclusive_scaniLj16ELj100EEvPKT0_PS1_S1_,"axG",@progbits,_Z6kernelI14inclusive_scaniLj16ELj100EEvPKT0_PS1_S1_,comdat
	.protected	_Z6kernelI14inclusive_scaniLj16ELj100EEvPKT0_PS1_S1_ ; -- Begin function _Z6kernelI14inclusive_scaniLj16ELj100EEvPKT0_PS1_S1_
	.globl	_Z6kernelI14inclusive_scaniLj16ELj100EEvPKT0_PS1_S1_
	.p2align	8
	.type	_Z6kernelI14inclusive_scaniLj16ELj100EEvPKT0_PS1_S1_,@function
_Z6kernelI14inclusive_scaniLj16ELj100EEvPKT0_PS1_S1_: ; @_Z6kernelI14inclusive_scaniLj16ELj100EEvPKT0_PS1_S1_
; %bb.0:
	s_clause 0x1
	s_load_b32 s2, s[0:1], 0x24
	s_load_b128 s[4:7], s[0:1], 0x0
	s_movk_i32 s3, 0x64
	s_waitcnt lgkmcnt(0)
	s_and_b32 s0, s2, 0xffff
	s_delay_alu instid0(SALU_CYCLE_1) | instskip(SKIP_1) | instid1(VALU_DEP_1)
	v_mad_u64_u32 v[1:2], null, s15, s0, v[0:1]
	v_mov_b32_e32 v2, 0
	v_lshlrev_b64 v[0:1], 2, v[1:2]
	s_delay_alu instid0(VALU_DEP_1) | instskip(NEXT) | instid1(VALU_DEP_2)
	v_add_co_u32 v2, vcc_lo, s4, v0
	v_add_co_ci_u32_e32 v3, vcc_lo, s5, v1, vcc_lo
	global_load_b32 v2, v[2:3], off
	v_mbcnt_lo_u32_b32 v3, -1, 0
	s_delay_alu instid0(VALU_DEP_1) | instskip(NEXT) | instid1(VALU_DEP_1)
	v_and_b32_e32 v3, 15, v3
	v_cmp_eq_u32_e32 vcc_lo, 0, v3
	v_cmp_lt_u32_e64 s0, 1, v3
	v_cmp_lt_u32_e64 s1, 3, v3
	;; [unrolled: 1-line block ×3, first 2 shown]
	.p2align	6
.LBB2_1:                                ; =>This Inner Loop Header: Depth=1
	s_waitcnt vmcnt(0)
	s_delay_alu instid0(VALU_DEP_1) | instskip(SKIP_1) | instid1(SALU_CYCLE_1)
	v_mov_b32_dpp v3, v2 row_shr:1 row_mask:0xf bank_mask:0xf
	s_add_i32 s3, s3, -1
	s_cmp_lg_u32 s3, 0
	s_delay_alu instid0(VALU_DEP_1) | instskip(NEXT) | instid1(VALU_DEP_1)
	v_cndmask_b32_e64 v3, v3, 0, vcc_lo
	v_add_nc_u32_e32 v2, v3, v2
	s_delay_alu instid0(VALU_DEP_1) | instskip(NEXT) | instid1(VALU_DEP_1)
	v_mov_b32_dpp v3, v2 row_shr:2 row_mask:0xf bank_mask:0xf
	v_cndmask_b32_e64 v3, 0, v3, s0
	s_delay_alu instid0(VALU_DEP_1) | instskip(NEXT) | instid1(VALU_DEP_1)
	v_add_nc_u32_e32 v2, v2, v3
	v_mov_b32_dpp v3, v2 row_shr:4 row_mask:0xf bank_mask:0xf
	s_delay_alu instid0(VALU_DEP_1) | instskip(NEXT) | instid1(VALU_DEP_1)
	v_cndmask_b32_e64 v3, 0, v3, s1
	v_add_nc_u32_e32 v2, v2, v3
	s_delay_alu instid0(VALU_DEP_1) | instskip(NEXT) | instid1(VALU_DEP_1)
	v_mov_b32_dpp v3, v2 row_shr:8 row_mask:0xf bank_mask:0xf
	v_cndmask_b32_e64 v3, 0, v3, s2
	s_delay_alu instid0(VALU_DEP_1)
	v_add_nc_u32_e32 v2, v2, v3
	s_cbranch_scc1 .LBB2_1
; %bb.2:
	v_add_co_u32 v0, vcc_lo, s6, v0
	v_add_co_ci_u32_e32 v1, vcc_lo, s7, v1, vcc_lo
	global_store_b32 v[0:1], v2, off
	s_nop 0
	s_sendmsg sendmsg(MSG_DEALLOC_VGPRS)
	s_endpgm
	.section	.rodata,"a",@progbits
	.p2align	6, 0x0
	.amdhsa_kernel _Z6kernelI14inclusive_scaniLj16ELj100EEvPKT0_PS1_S1_
		.amdhsa_group_segment_fixed_size 0
		.amdhsa_private_segment_fixed_size 0
		.amdhsa_kernarg_size 280
		.amdhsa_user_sgpr_count 15
		.amdhsa_user_sgpr_dispatch_ptr 0
		.amdhsa_user_sgpr_queue_ptr 0
		.amdhsa_user_sgpr_kernarg_segment_ptr 1
		.amdhsa_user_sgpr_dispatch_id 0
		.amdhsa_user_sgpr_private_segment_size 0
		.amdhsa_wavefront_size32 1
		.amdhsa_uses_dynamic_stack 0
		.amdhsa_enable_private_segment 0
		.amdhsa_system_sgpr_workgroup_id_x 1
		.amdhsa_system_sgpr_workgroup_id_y 0
		.amdhsa_system_sgpr_workgroup_id_z 0
		.amdhsa_system_sgpr_workgroup_info 0
		.amdhsa_system_vgpr_workitem_id 0
		.amdhsa_next_free_vgpr 4
		.amdhsa_next_free_sgpr 16
		.amdhsa_reserve_vcc 1
		.amdhsa_float_round_mode_32 0
		.amdhsa_float_round_mode_16_64 0
		.amdhsa_float_denorm_mode_32 3
		.amdhsa_float_denorm_mode_16_64 3
		.amdhsa_dx10_clamp 1
		.amdhsa_ieee_mode 1
		.amdhsa_fp16_overflow 0
		.amdhsa_workgroup_processor_mode 1
		.amdhsa_memory_ordered 1
		.amdhsa_forward_progress 0
		.amdhsa_shared_vgpr_count 0
		.amdhsa_exception_fp_ieee_invalid_op 0
		.amdhsa_exception_fp_denorm_src 0
		.amdhsa_exception_fp_ieee_div_zero 0
		.amdhsa_exception_fp_ieee_overflow 0
		.amdhsa_exception_fp_ieee_underflow 0
		.amdhsa_exception_fp_ieee_inexact 0
		.amdhsa_exception_int_div_zero 0
	.end_amdhsa_kernel
	.section	.text._Z6kernelI14inclusive_scaniLj16ELj100EEvPKT0_PS1_S1_,"axG",@progbits,_Z6kernelI14inclusive_scaniLj16ELj100EEvPKT0_PS1_S1_,comdat
.Lfunc_end2:
	.size	_Z6kernelI14inclusive_scaniLj16ELj100EEvPKT0_PS1_S1_, .Lfunc_end2-_Z6kernelI14inclusive_scaniLj16ELj100EEvPKT0_PS1_S1_
                                        ; -- End function
	.section	.AMDGPU.csdata,"",@progbits
; Kernel info:
; codeLenInByte = 284
; NumSgprs: 18
; NumVgprs: 4
; ScratchSize: 0
; MemoryBound: 0
; FloatMode: 240
; IeeeMode: 1
; LDSByteSize: 0 bytes/workgroup (compile time only)
; SGPRBlocks: 2
; VGPRBlocks: 0
; NumSGPRsForWavesPerEU: 18
; NumVGPRsForWavesPerEU: 4
; Occupancy: 16
; WaveLimiterHint : 0
; COMPUTE_PGM_RSRC2:SCRATCH_EN: 0
; COMPUTE_PGM_RSRC2:USER_SGPR: 15
; COMPUTE_PGM_RSRC2:TRAP_HANDLER: 0
; COMPUTE_PGM_RSRC2:TGID_X_EN: 1
; COMPUTE_PGM_RSRC2:TGID_Y_EN: 0
; COMPUTE_PGM_RSRC2:TGID_Z_EN: 0
; COMPUTE_PGM_RSRC2:TIDIG_COMP_CNT: 0
	.section	.text._Z6kernelI14inclusive_scaniLj63ELj100EEvPKT0_PS1_S1_,"axG",@progbits,_Z6kernelI14inclusive_scaniLj63ELj100EEvPKT0_PS1_S1_,comdat
	.protected	_Z6kernelI14inclusive_scaniLj63ELj100EEvPKT0_PS1_S1_ ; -- Begin function _Z6kernelI14inclusive_scaniLj63ELj100EEvPKT0_PS1_S1_
	.globl	_Z6kernelI14inclusive_scaniLj63ELj100EEvPKT0_PS1_S1_
	.p2align	8
	.type	_Z6kernelI14inclusive_scaniLj63ELj100EEvPKT0_PS1_S1_,@function
_Z6kernelI14inclusive_scaniLj63ELj100EEvPKT0_PS1_S1_: ; @_Z6kernelI14inclusive_scaniLj63ELj100EEvPKT0_PS1_S1_
; %bb.0:
	s_clause 0x1
	s_load_b32 s4, s[0:1], 0x24
	s_load_b128 s[0:3], s[0:1], 0x0
	s_waitcnt lgkmcnt(0)
	s_and_b32 s4, s4, 0xffff
	s_delay_alu instid0(SALU_CYCLE_1) | instskip(SKIP_1) | instid1(VALU_DEP_1)
	v_mad_u64_u32 v[1:2], null, s15, s4, v[0:1]
	v_mov_b32_e32 v2, 0
	v_lshlrev_b64 v[0:1], 2, v[1:2]
	s_delay_alu instid0(VALU_DEP_1) | instskip(NEXT) | instid1(VALU_DEP_2)
	v_add_co_u32 v2, vcc_lo, s0, v0
	v_add_co_ci_u32_e32 v3, vcc_lo, s1, v1, vcc_lo
	v_add_co_u32 v0, vcc_lo, s2, v0
	v_add_co_ci_u32_e32 v1, vcc_lo, s3, v1, vcc_lo
	global_load_b32 v2, v[2:3], off
	s_waitcnt vmcnt(0)
	global_store_b32 v[0:1], v2, off
	s_nop 0
	s_sendmsg sendmsg(MSG_DEALLOC_VGPRS)
	s_endpgm
	.section	.rodata,"a",@progbits
	.p2align	6, 0x0
	.amdhsa_kernel _Z6kernelI14inclusive_scaniLj63ELj100EEvPKT0_PS1_S1_
		.amdhsa_group_segment_fixed_size 0
		.amdhsa_private_segment_fixed_size 0
		.amdhsa_kernarg_size 280
		.amdhsa_user_sgpr_count 15
		.amdhsa_user_sgpr_dispatch_ptr 0
		.amdhsa_user_sgpr_queue_ptr 0
		.amdhsa_user_sgpr_kernarg_segment_ptr 1
		.amdhsa_user_sgpr_dispatch_id 0
		.amdhsa_user_sgpr_private_segment_size 0
		.amdhsa_wavefront_size32 1
		.amdhsa_uses_dynamic_stack 0
		.amdhsa_enable_private_segment 0
		.amdhsa_system_sgpr_workgroup_id_x 1
		.amdhsa_system_sgpr_workgroup_id_y 0
		.amdhsa_system_sgpr_workgroup_id_z 0
		.amdhsa_system_sgpr_workgroup_info 0
		.amdhsa_system_vgpr_workitem_id 0
		.amdhsa_next_free_vgpr 4
		.amdhsa_next_free_sgpr 16
		.amdhsa_reserve_vcc 1
		.amdhsa_float_round_mode_32 0
		.amdhsa_float_round_mode_16_64 0
		.amdhsa_float_denorm_mode_32 3
		.amdhsa_float_denorm_mode_16_64 3
		.amdhsa_dx10_clamp 1
		.amdhsa_ieee_mode 1
		.amdhsa_fp16_overflow 0
		.amdhsa_workgroup_processor_mode 1
		.amdhsa_memory_ordered 1
		.amdhsa_forward_progress 0
		.amdhsa_shared_vgpr_count 0
		.amdhsa_exception_fp_ieee_invalid_op 0
		.amdhsa_exception_fp_denorm_src 0
		.amdhsa_exception_fp_ieee_div_zero 0
		.amdhsa_exception_fp_ieee_overflow 0
		.amdhsa_exception_fp_ieee_underflow 0
		.amdhsa_exception_fp_ieee_inexact 0
		.amdhsa_exception_int_div_zero 0
	.end_amdhsa_kernel
	.section	.text._Z6kernelI14inclusive_scaniLj63ELj100EEvPKT0_PS1_S1_,"axG",@progbits,_Z6kernelI14inclusive_scaniLj63ELj100EEvPKT0_PS1_S1_,comdat
.Lfunc_end3:
	.size	_Z6kernelI14inclusive_scaniLj63ELj100EEvPKT0_PS1_S1_, .Lfunc_end3-_Z6kernelI14inclusive_scaniLj63ELj100EEvPKT0_PS1_S1_
                                        ; -- End function
	.section	.AMDGPU.csdata,"",@progbits
; Kernel info:
; codeLenInByte = 116
; NumSgprs: 18
; NumVgprs: 4
; ScratchSize: 0
; MemoryBound: 0
; FloatMode: 240
; IeeeMode: 1
; LDSByteSize: 0 bytes/workgroup (compile time only)
; SGPRBlocks: 2
; VGPRBlocks: 0
; NumSGPRsForWavesPerEU: 18
; NumVGPRsForWavesPerEU: 4
; Occupancy: 16
; WaveLimiterHint : 0
; COMPUTE_PGM_RSRC2:SCRATCH_EN: 0
; COMPUTE_PGM_RSRC2:USER_SGPR: 15
; COMPUTE_PGM_RSRC2:TRAP_HANDLER: 0
; COMPUTE_PGM_RSRC2:TGID_X_EN: 1
; COMPUTE_PGM_RSRC2:TGID_Y_EN: 0
; COMPUTE_PGM_RSRC2:TGID_Z_EN: 0
; COMPUTE_PGM_RSRC2:TIDIG_COMP_CNT: 0
	.section	.text._Z6kernelI14inclusive_scaniLj31ELj100EEvPKT0_PS1_S1_,"axG",@progbits,_Z6kernelI14inclusive_scaniLj31ELj100EEvPKT0_PS1_S1_,comdat
	.protected	_Z6kernelI14inclusive_scaniLj31ELj100EEvPKT0_PS1_S1_ ; -- Begin function _Z6kernelI14inclusive_scaniLj31ELj100EEvPKT0_PS1_S1_
	.globl	_Z6kernelI14inclusive_scaniLj31ELj100EEvPKT0_PS1_S1_
	.p2align	8
	.type	_Z6kernelI14inclusive_scaniLj31ELj100EEvPKT0_PS1_S1_,@function
_Z6kernelI14inclusive_scaniLj31ELj100EEvPKT0_PS1_S1_: ; @_Z6kernelI14inclusive_scaniLj31ELj100EEvPKT0_PS1_S1_
; %bb.0:
	s_clause 0x1
	s_load_b32 s2, s[0:1], 0x24
	s_load_b128 s[4:7], s[0:1], 0x0
	s_waitcnt lgkmcnt(0)
	s_and_b32 s0, s2, 0xffff
	s_delay_alu instid0(SALU_CYCLE_1) | instskip(SKIP_1) | instid1(VALU_DEP_1)
	v_mad_u64_u32 v[1:2], null, s15, s0, v[0:1]
	v_mov_b32_e32 v2, 0
	v_lshlrev_b64 v[0:1], 2, v[1:2]
	s_delay_alu instid0(VALU_DEP_1) | instskip(NEXT) | instid1(VALU_DEP_2)
	v_add_co_u32 v2, vcc_lo, s4, v0
	v_add_co_ci_u32_e32 v3, vcc_lo, s5, v1, vcc_lo
	s_movk_i32 s4, 0x64
	global_load_b32 v2, v[2:3], off
	v_mbcnt_lo_u32_b32 v3, -1, 0
	s_delay_alu instid0(VALU_DEP_1) | instskip(NEXT) | instid1(VALU_DEP_1)
	v_mul_hi_u32 v4, 0x8421085, v3
	v_mul_u32_u24_e32 v4, 31, v4
	s_delay_alu instid0(VALU_DEP_1) | instskip(NEXT) | instid1(VALU_DEP_1)
	v_sub_nc_u32_e32 v4, v3, v4
	v_lshlrev_b32_e32 v3, 2, v4
	v_cmp_ne_u32_e32 vcc_lo, 0, v4
	v_cmp_lt_u32_e64 s0, 1, v4
	v_cmp_lt_u32_e64 s1, 3, v4
	;; [unrolled: 1-line block ×4, first 2 shown]
	v_add_nc_u32_e32 v4, -4, v3
	v_add_nc_u32_e32 v5, -8, v3
	;; [unrolled: 1-line block ×3, first 2 shown]
	v_subrev_nc_u32_e32 v7, 32, v3
	v_subrev_nc_u32_e32 v8, 64, v3
	s_branch .LBB4_2
.LBB4_1:                                ;   in Loop: Header=BB4_2 Depth=1
	s_or_b32 exec_lo, exec_lo, s5
	s_add_i32 s4, s4, -1
	s_delay_alu instid0(SALU_CYCLE_1)
	s_cmp_lg_u32 s4, 0
	; wave barrier
	s_cbranch_scc0 .LBB4_22
.LBB4_2:                                ; =>This Inner Loop Header: Depth=1
	s_waitcnt vmcnt(0)
	ds_store_b32 v3, v2
	; wave barrier
	s_and_saveexec_b32 s5, vcc_lo
	s_cbranch_execz .LBB4_4
; %bb.3:                                ;   in Loop: Header=BB4_2 Depth=1
	ds_load_b32 v9, v4
	s_waitcnt lgkmcnt(0)
	v_add_nc_u32_e32 v2, v9, v2
.LBB4_4:                                ;   in Loop: Header=BB4_2 Depth=1
	s_or_b32 exec_lo, exec_lo, s5
	; wave barrier
	s_and_saveexec_b32 s5, vcc_lo
	s_cbranch_execz .LBB4_6
; %bb.5:                                ;   in Loop: Header=BB4_2 Depth=1
	ds_store_b32 v3, v2
.LBB4_6:                                ;   in Loop: Header=BB4_2 Depth=1
	s_or_b32 exec_lo, exec_lo, s5
	; wave barrier
	s_and_saveexec_b32 s5, s0
	s_cbranch_execz .LBB4_8
; %bb.7:                                ;   in Loop: Header=BB4_2 Depth=1
	ds_load_b32 v9, v5
	s_waitcnt lgkmcnt(0)
	v_add_nc_u32_e32 v2, v9, v2
.LBB4_8:                                ;   in Loop: Header=BB4_2 Depth=1
	s_or_b32 exec_lo, exec_lo, s5
	; wave barrier
	s_and_saveexec_b32 s5, s0
	s_cbranch_execz .LBB4_10
; %bb.9:                                ;   in Loop: Header=BB4_2 Depth=1
	ds_store_b32 v3, v2
.LBB4_10:                               ;   in Loop: Header=BB4_2 Depth=1
	s_or_b32 exec_lo, exec_lo, s5
	; wave barrier
	s_and_saveexec_b32 s5, s1
	s_cbranch_execz .LBB4_12
; %bb.11:                               ;   in Loop: Header=BB4_2 Depth=1
	ds_load_b32 v9, v6
	s_waitcnt lgkmcnt(0)
	v_add_nc_u32_e32 v2, v9, v2
.LBB4_12:                               ;   in Loop: Header=BB4_2 Depth=1
	s_or_b32 exec_lo, exec_lo, s5
	; wave barrier
	s_and_saveexec_b32 s5, s1
	s_cbranch_execz .LBB4_14
; %bb.13:                               ;   in Loop: Header=BB4_2 Depth=1
	ds_store_b32 v3, v2
.LBB4_14:                               ;   in Loop: Header=BB4_2 Depth=1
	s_or_b32 exec_lo, exec_lo, s5
	; wave barrier
	s_and_saveexec_b32 s5, s2
	s_cbranch_execz .LBB4_16
; %bb.15:                               ;   in Loop: Header=BB4_2 Depth=1
	ds_load_b32 v9, v7
	s_waitcnt lgkmcnt(0)
	v_add_nc_u32_e32 v2, v9, v2
.LBB4_16:                               ;   in Loop: Header=BB4_2 Depth=1
	s_or_b32 exec_lo, exec_lo, s5
	; wave barrier
	s_and_saveexec_b32 s5, s2
	s_cbranch_execz .LBB4_18
; %bb.17:                               ;   in Loop: Header=BB4_2 Depth=1
	ds_store_b32 v3, v2
.LBB4_18:                               ;   in Loop: Header=BB4_2 Depth=1
	s_or_b32 exec_lo, exec_lo, s5
	; wave barrier
	s_and_saveexec_b32 s5, s3
	s_cbranch_execz .LBB4_20
; %bb.19:                               ;   in Loop: Header=BB4_2 Depth=1
	ds_load_b32 v9, v8
	s_waitcnt lgkmcnt(0)
	v_add_nc_u32_e32 v2, v9, v2
.LBB4_20:                               ;   in Loop: Header=BB4_2 Depth=1
	s_or_b32 exec_lo, exec_lo, s5
	; wave barrier
	s_and_saveexec_b32 s5, s3
	s_cbranch_execz .LBB4_1
; %bb.21:                               ;   in Loop: Header=BB4_2 Depth=1
	ds_store_b32 v3, v2
	s_branch .LBB4_1
.LBB4_22:
	v_add_co_u32 v0, vcc_lo, s6, v0
	v_add_co_ci_u32_e32 v1, vcc_lo, s7, v1, vcc_lo
	global_store_b32 v[0:1], v2, off
	s_nop 0
	s_sendmsg sendmsg(MSG_DEALLOC_VGPRS)
	s_endpgm
	.section	.rodata,"a",@progbits
	.p2align	6, 0x0
	.amdhsa_kernel _Z6kernelI14inclusive_scaniLj31ELj100EEvPKT0_PS1_S1_
		.amdhsa_group_segment_fixed_size 124
		.amdhsa_private_segment_fixed_size 0
		.amdhsa_kernarg_size 280
		.amdhsa_user_sgpr_count 15
		.amdhsa_user_sgpr_dispatch_ptr 0
		.amdhsa_user_sgpr_queue_ptr 0
		.amdhsa_user_sgpr_kernarg_segment_ptr 1
		.amdhsa_user_sgpr_dispatch_id 0
		.amdhsa_user_sgpr_private_segment_size 0
		.amdhsa_wavefront_size32 1
		.amdhsa_uses_dynamic_stack 0
		.amdhsa_enable_private_segment 0
		.amdhsa_system_sgpr_workgroup_id_x 1
		.amdhsa_system_sgpr_workgroup_id_y 0
		.amdhsa_system_sgpr_workgroup_id_z 0
		.amdhsa_system_sgpr_workgroup_info 0
		.amdhsa_system_vgpr_workitem_id 0
		.amdhsa_next_free_vgpr 10
		.amdhsa_next_free_sgpr 16
		.amdhsa_reserve_vcc 1
		.amdhsa_float_round_mode_32 0
		.amdhsa_float_round_mode_16_64 0
		.amdhsa_float_denorm_mode_32 3
		.amdhsa_float_denorm_mode_16_64 3
		.amdhsa_dx10_clamp 1
		.amdhsa_ieee_mode 1
		.amdhsa_fp16_overflow 0
		.amdhsa_workgroup_processor_mode 1
		.amdhsa_memory_ordered 1
		.amdhsa_forward_progress 0
		.amdhsa_shared_vgpr_count 0
		.amdhsa_exception_fp_ieee_invalid_op 0
		.amdhsa_exception_fp_denorm_src 0
		.amdhsa_exception_fp_ieee_div_zero 0
		.amdhsa_exception_fp_ieee_overflow 0
		.amdhsa_exception_fp_ieee_underflow 0
		.amdhsa_exception_fp_ieee_inexact 0
		.amdhsa_exception_int_div_zero 0
	.end_amdhsa_kernel
	.section	.text._Z6kernelI14inclusive_scaniLj31ELj100EEvPKT0_PS1_S1_,"axG",@progbits,_Z6kernelI14inclusive_scaniLj31ELj100EEvPKT0_PS1_S1_,comdat
.Lfunc_end4:
	.size	_Z6kernelI14inclusive_scaniLj31ELj100EEvPKT0_PS1_S1_, .Lfunc_end4-_Z6kernelI14inclusive_scaniLj31ELj100EEvPKT0_PS1_S1_
                                        ; -- End function
	.section	.AMDGPU.csdata,"",@progbits
; Kernel info:
; codeLenInByte = 488
; NumSgprs: 18
; NumVgprs: 10
; ScratchSize: 0
; MemoryBound: 0
; FloatMode: 240
; IeeeMode: 1
; LDSByteSize: 124 bytes/workgroup (compile time only)
; SGPRBlocks: 2
; VGPRBlocks: 1
; NumSGPRsForWavesPerEU: 18
; NumVGPRsForWavesPerEU: 10
; Occupancy: 16
; WaveLimiterHint : 0
; COMPUTE_PGM_RSRC2:SCRATCH_EN: 0
; COMPUTE_PGM_RSRC2:USER_SGPR: 15
; COMPUTE_PGM_RSRC2:TRAP_HANDLER: 0
; COMPUTE_PGM_RSRC2:TGID_X_EN: 1
; COMPUTE_PGM_RSRC2:TGID_Y_EN: 0
; COMPUTE_PGM_RSRC2:TGID_Z_EN: 0
; COMPUTE_PGM_RSRC2:TIDIG_COMP_CNT: 0
	.section	.text._Z6kernelI14inclusive_scaniLj15ELj100EEvPKT0_PS1_S1_,"axG",@progbits,_Z6kernelI14inclusive_scaniLj15ELj100EEvPKT0_PS1_S1_,comdat
	.protected	_Z6kernelI14inclusive_scaniLj15ELj100EEvPKT0_PS1_S1_ ; -- Begin function _Z6kernelI14inclusive_scaniLj15ELj100EEvPKT0_PS1_S1_
	.globl	_Z6kernelI14inclusive_scaniLj15ELj100EEvPKT0_PS1_S1_
	.p2align	8
	.type	_Z6kernelI14inclusive_scaniLj15ELj100EEvPKT0_PS1_S1_,@function
_Z6kernelI14inclusive_scaniLj15ELj100EEvPKT0_PS1_S1_: ; @_Z6kernelI14inclusive_scaniLj15ELj100EEvPKT0_PS1_S1_
; %bb.0:
	s_clause 0x1
	s_load_b32 s2, s[0:1], 0x24
	s_load_b128 s[4:7], s[0:1], 0x0
	s_movk_i32 s3, 0x64
	s_waitcnt lgkmcnt(0)
	s_and_b32 s0, s2, 0xffff
	s_delay_alu instid0(SALU_CYCLE_1) | instskip(SKIP_1) | instid1(VALU_DEP_1)
	v_mad_u64_u32 v[1:2], null, s15, s0, v[0:1]
	v_mov_b32_e32 v2, 0
	v_lshlrev_b64 v[0:1], 2, v[1:2]
	s_delay_alu instid0(VALU_DEP_1) | instskip(NEXT) | instid1(VALU_DEP_2)
	v_add_co_u32 v2, vcc_lo, s4, v0
	v_add_co_ci_u32_e32 v3, vcc_lo, s5, v1, vcc_lo
	global_load_b32 v2, v[2:3], off
	v_mbcnt_lo_u32_b32 v3, -1, 0
	s_delay_alu instid0(VALU_DEP_1) | instskip(NEXT) | instid1(VALU_DEP_1)
	v_mul_hi_u32 v4, 0x11111112, v3
	v_mul_u32_u24_e32 v4, 15, v4
	s_delay_alu instid0(VALU_DEP_1) | instskip(NEXT) | instid1(VALU_DEP_1)
	v_sub_nc_u32_e32 v4, v3, v4
	v_lshlrev_b32_e32 v3, 2, v4
	v_cmp_ne_u32_e32 vcc_lo, 0, v4
	v_cmp_lt_u32_e64 s0, 1, v4
	v_cmp_lt_u32_e64 s1, 3, v4
	;; [unrolled: 1-line block ×3, first 2 shown]
	v_add_nc_u32_e32 v4, -4, v3
	v_add_nc_u32_e32 v5, -8, v3
	;; [unrolled: 1-line block ×3, first 2 shown]
	v_subrev_nc_u32_e32 v7, 32, v3
	s_branch .LBB5_2
.LBB5_1:                                ;   in Loop: Header=BB5_2 Depth=1
	s_or_b32 exec_lo, exec_lo, s4
	s_add_i32 s3, s3, -1
	s_delay_alu instid0(SALU_CYCLE_1)
	s_cmp_lg_u32 s3, 0
	; wave barrier
	s_cbranch_scc0 .LBB5_18
.LBB5_2:                                ; =>This Inner Loop Header: Depth=1
	s_waitcnt vmcnt(0)
	ds_store_b32 v3, v2
	; wave barrier
	s_and_saveexec_b32 s4, vcc_lo
	s_cbranch_execz .LBB5_4
; %bb.3:                                ;   in Loop: Header=BB5_2 Depth=1
	ds_load_b32 v8, v4
	s_waitcnt lgkmcnt(0)
	v_add_nc_u32_e32 v2, v8, v2
.LBB5_4:                                ;   in Loop: Header=BB5_2 Depth=1
	s_or_b32 exec_lo, exec_lo, s4
	; wave barrier
	s_and_saveexec_b32 s4, vcc_lo
	s_cbranch_execz .LBB5_6
; %bb.5:                                ;   in Loop: Header=BB5_2 Depth=1
	ds_store_b32 v3, v2
.LBB5_6:                                ;   in Loop: Header=BB5_2 Depth=1
	s_or_b32 exec_lo, exec_lo, s4
	; wave barrier
	s_and_saveexec_b32 s4, s0
	s_cbranch_execz .LBB5_8
; %bb.7:                                ;   in Loop: Header=BB5_2 Depth=1
	ds_load_b32 v8, v5
	s_waitcnt lgkmcnt(0)
	v_add_nc_u32_e32 v2, v8, v2
.LBB5_8:                                ;   in Loop: Header=BB5_2 Depth=1
	s_or_b32 exec_lo, exec_lo, s4
	; wave barrier
	s_and_saveexec_b32 s4, s0
	s_cbranch_execz .LBB5_10
; %bb.9:                                ;   in Loop: Header=BB5_2 Depth=1
	ds_store_b32 v3, v2
.LBB5_10:                               ;   in Loop: Header=BB5_2 Depth=1
	s_or_b32 exec_lo, exec_lo, s4
	; wave barrier
	s_and_saveexec_b32 s4, s1
	s_cbranch_execz .LBB5_12
; %bb.11:                               ;   in Loop: Header=BB5_2 Depth=1
	ds_load_b32 v8, v6
	s_waitcnt lgkmcnt(0)
	v_add_nc_u32_e32 v2, v8, v2
.LBB5_12:                               ;   in Loop: Header=BB5_2 Depth=1
	s_or_b32 exec_lo, exec_lo, s4
	; wave barrier
	s_and_saveexec_b32 s4, s1
	s_cbranch_execz .LBB5_14
; %bb.13:                               ;   in Loop: Header=BB5_2 Depth=1
	ds_store_b32 v3, v2
.LBB5_14:                               ;   in Loop: Header=BB5_2 Depth=1
	s_or_b32 exec_lo, exec_lo, s4
	; wave barrier
	s_and_saveexec_b32 s4, s2
	s_cbranch_execz .LBB5_16
; %bb.15:                               ;   in Loop: Header=BB5_2 Depth=1
	ds_load_b32 v8, v7
	s_waitcnt lgkmcnt(0)
	v_add_nc_u32_e32 v2, v8, v2
.LBB5_16:                               ;   in Loop: Header=BB5_2 Depth=1
	s_or_b32 exec_lo, exec_lo, s4
	; wave barrier
	s_and_saveexec_b32 s4, s2
	s_cbranch_execz .LBB5_1
; %bb.17:                               ;   in Loop: Header=BB5_2 Depth=1
	ds_store_b32 v3, v2
	s_branch .LBB5_1
.LBB5_18:
	v_add_co_u32 v0, vcc_lo, s6, v0
	v_add_co_ci_u32_e32 v1, vcc_lo, s7, v1, vcc_lo
	global_store_b32 v[0:1], v2, off
	s_nop 0
	s_sendmsg sendmsg(MSG_DEALLOC_VGPRS)
	s_endpgm
	.section	.rodata,"a",@progbits
	.p2align	6, 0x0
	.amdhsa_kernel _Z6kernelI14inclusive_scaniLj15ELj100EEvPKT0_PS1_S1_
		.amdhsa_group_segment_fixed_size 60
		.amdhsa_private_segment_fixed_size 0
		.amdhsa_kernarg_size 280
		.amdhsa_user_sgpr_count 15
		.amdhsa_user_sgpr_dispatch_ptr 0
		.amdhsa_user_sgpr_queue_ptr 0
		.amdhsa_user_sgpr_kernarg_segment_ptr 1
		.amdhsa_user_sgpr_dispatch_id 0
		.amdhsa_user_sgpr_private_segment_size 0
		.amdhsa_wavefront_size32 1
		.amdhsa_uses_dynamic_stack 0
		.amdhsa_enable_private_segment 0
		.amdhsa_system_sgpr_workgroup_id_x 1
		.amdhsa_system_sgpr_workgroup_id_y 0
		.amdhsa_system_sgpr_workgroup_id_z 0
		.amdhsa_system_sgpr_workgroup_info 0
		.amdhsa_system_vgpr_workitem_id 0
		.amdhsa_next_free_vgpr 9
		.amdhsa_next_free_sgpr 16
		.amdhsa_reserve_vcc 1
		.amdhsa_float_round_mode_32 0
		.amdhsa_float_round_mode_16_64 0
		.amdhsa_float_denorm_mode_32 3
		.amdhsa_float_denorm_mode_16_64 3
		.amdhsa_dx10_clamp 1
		.amdhsa_ieee_mode 1
		.amdhsa_fp16_overflow 0
		.amdhsa_workgroup_processor_mode 1
		.amdhsa_memory_ordered 1
		.amdhsa_forward_progress 0
		.amdhsa_shared_vgpr_count 0
		.amdhsa_exception_fp_ieee_invalid_op 0
		.amdhsa_exception_fp_denorm_src 0
		.amdhsa_exception_fp_ieee_div_zero 0
		.amdhsa_exception_fp_ieee_overflow 0
		.amdhsa_exception_fp_ieee_underflow 0
		.amdhsa_exception_fp_ieee_inexact 0
		.amdhsa_exception_int_div_zero 0
	.end_amdhsa_kernel
	.section	.text._Z6kernelI14inclusive_scaniLj15ELj100EEvPKT0_PS1_S1_,"axG",@progbits,_Z6kernelI14inclusive_scaniLj15ELj100EEvPKT0_PS1_S1_,comdat
.Lfunc_end5:
	.size	_Z6kernelI14inclusive_scaniLj15ELj100EEvPKT0_PS1_S1_, .Lfunc_end5-_Z6kernelI14inclusive_scaniLj15ELj100EEvPKT0_PS1_S1_
                                        ; -- End function
	.section	.AMDGPU.csdata,"",@progbits
; Kernel info:
; codeLenInByte = 428
; NumSgprs: 18
; NumVgprs: 9
; ScratchSize: 0
; MemoryBound: 0
; FloatMode: 240
; IeeeMode: 1
; LDSByteSize: 60 bytes/workgroup (compile time only)
; SGPRBlocks: 2
; VGPRBlocks: 1
; NumSGPRsForWavesPerEU: 18
; NumVGPRsForWavesPerEU: 9
; Occupancy: 16
; WaveLimiterHint : 0
; COMPUTE_PGM_RSRC2:SCRATCH_EN: 0
; COMPUTE_PGM_RSRC2:USER_SGPR: 15
; COMPUTE_PGM_RSRC2:TRAP_HANDLER: 0
; COMPUTE_PGM_RSRC2:TGID_X_EN: 1
; COMPUTE_PGM_RSRC2:TGID_Y_EN: 0
; COMPUTE_PGM_RSRC2:TGID_Z_EN: 0
; COMPUTE_PGM_RSRC2:TIDIG_COMP_CNT: 0
	.section	.text._Z6kernelI14inclusive_scanfLj64ELj100EEvPKT0_PS1_S1_,"axG",@progbits,_Z6kernelI14inclusive_scanfLj64ELj100EEvPKT0_PS1_S1_,comdat
	.protected	_Z6kernelI14inclusive_scanfLj64ELj100EEvPKT0_PS1_S1_ ; -- Begin function _Z6kernelI14inclusive_scanfLj64ELj100EEvPKT0_PS1_S1_
	.globl	_Z6kernelI14inclusive_scanfLj64ELj100EEvPKT0_PS1_S1_
	.p2align	8
	.type	_Z6kernelI14inclusive_scanfLj64ELj100EEvPKT0_PS1_S1_,@function
_Z6kernelI14inclusive_scanfLj64ELj100EEvPKT0_PS1_S1_: ; @_Z6kernelI14inclusive_scanfLj64ELj100EEvPKT0_PS1_S1_
; %bb.0:
	s_clause 0x1
	s_load_b32 s4, s[0:1], 0x24
	s_load_b128 s[0:3], s[0:1], 0x0
	s_waitcnt lgkmcnt(0)
	s_and_b32 s4, s4, 0xffff
	s_delay_alu instid0(SALU_CYCLE_1) | instskip(SKIP_1) | instid1(VALU_DEP_1)
	v_mad_u64_u32 v[1:2], null, s15, s4, v[0:1]
	v_mov_b32_e32 v2, 0
	v_lshlrev_b64 v[0:1], 2, v[1:2]
	s_delay_alu instid0(VALU_DEP_1) | instskip(NEXT) | instid1(VALU_DEP_2)
	v_add_co_u32 v2, vcc_lo, s0, v0
	v_add_co_ci_u32_e32 v3, vcc_lo, s1, v1, vcc_lo
	v_add_co_u32 v0, vcc_lo, s2, v0
	v_add_co_ci_u32_e32 v1, vcc_lo, s3, v1, vcc_lo
	global_load_b32 v2, v[2:3], off
	s_waitcnt vmcnt(0)
	global_store_b32 v[0:1], v2, off
	s_nop 0
	s_sendmsg sendmsg(MSG_DEALLOC_VGPRS)
	s_endpgm
	.section	.rodata,"a",@progbits
	.p2align	6, 0x0
	.amdhsa_kernel _Z6kernelI14inclusive_scanfLj64ELj100EEvPKT0_PS1_S1_
		.amdhsa_group_segment_fixed_size 0
		.amdhsa_private_segment_fixed_size 0
		.amdhsa_kernarg_size 280
		.amdhsa_user_sgpr_count 15
		.amdhsa_user_sgpr_dispatch_ptr 0
		.amdhsa_user_sgpr_queue_ptr 0
		.amdhsa_user_sgpr_kernarg_segment_ptr 1
		.amdhsa_user_sgpr_dispatch_id 0
		.amdhsa_user_sgpr_private_segment_size 0
		.amdhsa_wavefront_size32 1
		.amdhsa_uses_dynamic_stack 0
		.amdhsa_enable_private_segment 0
		.amdhsa_system_sgpr_workgroup_id_x 1
		.amdhsa_system_sgpr_workgroup_id_y 0
		.amdhsa_system_sgpr_workgroup_id_z 0
		.amdhsa_system_sgpr_workgroup_info 0
		.amdhsa_system_vgpr_workitem_id 0
		.amdhsa_next_free_vgpr 4
		.amdhsa_next_free_sgpr 16
		.amdhsa_reserve_vcc 1
		.amdhsa_float_round_mode_32 0
		.amdhsa_float_round_mode_16_64 0
		.amdhsa_float_denorm_mode_32 3
		.amdhsa_float_denorm_mode_16_64 3
		.amdhsa_dx10_clamp 1
		.amdhsa_ieee_mode 1
		.amdhsa_fp16_overflow 0
		.amdhsa_workgroup_processor_mode 1
		.amdhsa_memory_ordered 1
		.amdhsa_forward_progress 0
		.amdhsa_shared_vgpr_count 0
		.amdhsa_exception_fp_ieee_invalid_op 0
		.amdhsa_exception_fp_denorm_src 0
		.amdhsa_exception_fp_ieee_div_zero 0
		.amdhsa_exception_fp_ieee_overflow 0
		.amdhsa_exception_fp_ieee_underflow 0
		.amdhsa_exception_fp_ieee_inexact 0
		.amdhsa_exception_int_div_zero 0
	.end_amdhsa_kernel
	.section	.text._Z6kernelI14inclusive_scanfLj64ELj100EEvPKT0_PS1_S1_,"axG",@progbits,_Z6kernelI14inclusive_scanfLj64ELj100EEvPKT0_PS1_S1_,comdat
.Lfunc_end6:
	.size	_Z6kernelI14inclusive_scanfLj64ELj100EEvPKT0_PS1_S1_, .Lfunc_end6-_Z6kernelI14inclusive_scanfLj64ELj100EEvPKT0_PS1_S1_
                                        ; -- End function
	.section	.AMDGPU.csdata,"",@progbits
; Kernel info:
; codeLenInByte = 116
; NumSgprs: 18
; NumVgprs: 4
; ScratchSize: 0
; MemoryBound: 0
; FloatMode: 240
; IeeeMode: 1
; LDSByteSize: 0 bytes/workgroup (compile time only)
; SGPRBlocks: 2
; VGPRBlocks: 0
; NumSGPRsForWavesPerEU: 18
; NumVGPRsForWavesPerEU: 4
; Occupancy: 16
; WaveLimiterHint : 0
; COMPUTE_PGM_RSRC2:SCRATCH_EN: 0
; COMPUTE_PGM_RSRC2:USER_SGPR: 15
; COMPUTE_PGM_RSRC2:TRAP_HANDLER: 0
; COMPUTE_PGM_RSRC2:TGID_X_EN: 1
; COMPUTE_PGM_RSRC2:TGID_Y_EN: 0
; COMPUTE_PGM_RSRC2:TGID_Z_EN: 0
; COMPUTE_PGM_RSRC2:TIDIG_COMP_CNT: 0
	.section	.text._Z6kernelI14inclusive_scanfLj32ELj100EEvPKT0_PS1_S1_,"axG",@progbits,_Z6kernelI14inclusive_scanfLj32ELj100EEvPKT0_PS1_S1_,comdat
	.protected	_Z6kernelI14inclusive_scanfLj32ELj100EEvPKT0_PS1_S1_ ; -- Begin function _Z6kernelI14inclusive_scanfLj32ELj100EEvPKT0_PS1_S1_
	.globl	_Z6kernelI14inclusive_scanfLj32ELj100EEvPKT0_PS1_S1_
	.p2align	8
	.type	_Z6kernelI14inclusive_scanfLj32ELj100EEvPKT0_PS1_S1_,@function
_Z6kernelI14inclusive_scanfLj32ELj100EEvPKT0_PS1_S1_: ; @_Z6kernelI14inclusive_scanfLj32ELj100EEvPKT0_PS1_S1_
; %bb.0:
	s_clause 0x1
	s_load_b32 s2, s[0:1], 0x24
	s_load_b128 s[4:7], s[0:1], 0x0
	s_waitcnt lgkmcnt(0)
	s_and_b32 s0, s2, 0xffff
	s_delay_alu instid0(SALU_CYCLE_1) | instskip(SKIP_1) | instid1(VALU_DEP_1)
	v_mad_u64_u32 v[1:2], null, s15, s0, v[0:1]
	v_mov_b32_e32 v2, 0
	v_lshlrev_b64 v[0:1], 2, v[1:2]
	s_delay_alu instid0(VALU_DEP_1) | instskip(NEXT) | instid1(VALU_DEP_2)
	v_add_co_u32 v2, vcc_lo, s4, v0
	v_add_co_ci_u32_e32 v3, vcc_lo, s5, v1, vcc_lo
	s_movk_i32 s4, 0x64
	global_load_b32 v2, v[2:3], off
	v_mbcnt_lo_u32_b32 v3, -1, 0
	s_delay_alu instid0(VALU_DEP_1) | instskip(SKIP_1) | instid1(VALU_DEP_2)
	v_and_b32_e32 v4, 15, v3
	v_and_b32_e32 v3, 16, v3
	v_cmp_eq_u32_e32 vcc_lo, 0, v4
	v_cmp_lt_u32_e64 s0, 1, v4
	v_cmp_lt_u32_e64 s1, 3, v4
	;; [unrolled: 1-line block ×3, first 2 shown]
	v_cmp_eq_u32_e64 s3, 0, v3
	.p2align	6
.LBB7_1:                                ; =>This Inner Loop Header: Depth=1
	s_waitcnt vmcnt(0)
	s_delay_alu instid0(VALU_DEP_1) | instskip(SKIP_1) | instid1(SALU_CYCLE_1)
	v_mov_b32_dpp v3, v2 row_shr:1 row_mask:0xf bank_mask:0xf
	s_add_i32 s4, s4, -1
	s_cmp_lg_u32 s4, 0
	s_delay_alu instid0(VALU_DEP_1) | instskip(NEXT) | instid1(VALU_DEP_1)
	v_add_f32_e32 v3, v2, v3
	v_cndmask_b32_e32 v2, v3, v2, vcc_lo
	s_delay_alu instid0(VALU_DEP_1) | instskip(NEXT) | instid1(VALU_DEP_1)
	v_mov_b32_dpp v3, v2 row_shr:2 row_mask:0xf bank_mask:0xf
	v_add_f32_e32 v3, v2, v3
	s_delay_alu instid0(VALU_DEP_1) | instskip(NEXT) | instid1(VALU_DEP_1)
	v_cndmask_b32_e64 v2, v2, v3, s0
	v_mov_b32_dpp v3, v2 row_shr:4 row_mask:0xf bank_mask:0xf
	s_delay_alu instid0(VALU_DEP_1) | instskip(NEXT) | instid1(VALU_DEP_1)
	v_add_f32_e32 v3, v2, v3
	v_cndmask_b32_e64 v2, v2, v3, s1
	s_delay_alu instid0(VALU_DEP_1) | instskip(NEXT) | instid1(VALU_DEP_1)
	v_mov_b32_dpp v3, v2 row_shr:8 row_mask:0xf bank_mask:0xf
	v_add_f32_e32 v3, v2, v3
	s_delay_alu instid0(VALU_DEP_1) | instskip(SKIP_3) | instid1(VALU_DEP_1)
	v_cndmask_b32_e64 v2, v2, v3, s2
	ds_swizzle_b32 v3, v2 offset:swizzle(BROADCAST,32,15)
	s_waitcnt lgkmcnt(0)
	v_add_f32_e32 v3, v2, v3
	v_cndmask_b32_e64 v2, v3, v2, s3
	s_cbranch_scc1 .LBB7_1
; %bb.2:
	v_add_co_u32 v0, vcc_lo, s6, v0
	v_add_co_ci_u32_e32 v1, vcc_lo, s7, v1, vcc_lo
	global_store_b32 v[0:1], v2, off
	s_nop 0
	s_sendmsg sendmsg(MSG_DEALLOC_VGPRS)
	s_endpgm
	.section	.rodata,"a",@progbits
	.p2align	6, 0x0
	.amdhsa_kernel _Z6kernelI14inclusive_scanfLj32ELj100EEvPKT0_PS1_S1_
		.amdhsa_group_segment_fixed_size 0
		.amdhsa_private_segment_fixed_size 0
		.amdhsa_kernarg_size 280
		.amdhsa_user_sgpr_count 15
		.amdhsa_user_sgpr_dispatch_ptr 0
		.amdhsa_user_sgpr_queue_ptr 0
		.amdhsa_user_sgpr_kernarg_segment_ptr 1
		.amdhsa_user_sgpr_dispatch_id 0
		.amdhsa_user_sgpr_private_segment_size 0
		.amdhsa_wavefront_size32 1
		.amdhsa_uses_dynamic_stack 0
		.amdhsa_enable_private_segment 0
		.amdhsa_system_sgpr_workgroup_id_x 1
		.amdhsa_system_sgpr_workgroup_id_y 0
		.amdhsa_system_sgpr_workgroup_id_z 0
		.amdhsa_system_sgpr_workgroup_info 0
		.amdhsa_system_vgpr_workitem_id 0
		.amdhsa_next_free_vgpr 5
		.amdhsa_next_free_sgpr 16
		.amdhsa_reserve_vcc 1
		.amdhsa_float_round_mode_32 0
		.amdhsa_float_round_mode_16_64 0
		.amdhsa_float_denorm_mode_32 3
		.amdhsa_float_denorm_mode_16_64 3
		.amdhsa_dx10_clamp 1
		.amdhsa_ieee_mode 1
		.amdhsa_fp16_overflow 0
		.amdhsa_workgroup_processor_mode 1
		.amdhsa_memory_ordered 1
		.amdhsa_forward_progress 0
		.amdhsa_shared_vgpr_count 0
		.amdhsa_exception_fp_ieee_invalid_op 0
		.amdhsa_exception_fp_denorm_src 0
		.amdhsa_exception_fp_ieee_div_zero 0
		.amdhsa_exception_fp_ieee_overflow 0
		.amdhsa_exception_fp_ieee_underflow 0
		.amdhsa_exception_fp_ieee_inexact 0
		.amdhsa_exception_int_div_zero 0
	.end_amdhsa_kernel
	.section	.text._Z6kernelI14inclusive_scanfLj32ELj100EEvPKT0_PS1_S1_,"axG",@progbits,_Z6kernelI14inclusive_scanfLj32ELj100EEvPKT0_PS1_S1_,comdat
.Lfunc_end7:
	.size	_Z6kernelI14inclusive_scanfLj32ELj100EEvPKT0_PS1_S1_, .Lfunc_end7-_Z6kernelI14inclusive_scanfLj32ELj100EEvPKT0_PS1_S1_
                                        ; -- End function
	.section	.AMDGPU.csdata,"",@progbits
; Kernel info:
; codeLenInByte = 316
; NumSgprs: 18
; NumVgprs: 5
; ScratchSize: 0
; MemoryBound: 0
; FloatMode: 240
; IeeeMode: 1
; LDSByteSize: 0 bytes/workgroup (compile time only)
; SGPRBlocks: 2
; VGPRBlocks: 0
; NumSGPRsForWavesPerEU: 18
; NumVGPRsForWavesPerEU: 5
; Occupancy: 16
; WaveLimiterHint : 0
; COMPUTE_PGM_RSRC2:SCRATCH_EN: 0
; COMPUTE_PGM_RSRC2:USER_SGPR: 15
; COMPUTE_PGM_RSRC2:TRAP_HANDLER: 0
; COMPUTE_PGM_RSRC2:TGID_X_EN: 1
; COMPUTE_PGM_RSRC2:TGID_Y_EN: 0
; COMPUTE_PGM_RSRC2:TGID_Z_EN: 0
; COMPUTE_PGM_RSRC2:TIDIG_COMP_CNT: 0
	.section	.text._Z6kernelI14inclusive_scanfLj16ELj100EEvPKT0_PS1_S1_,"axG",@progbits,_Z6kernelI14inclusive_scanfLj16ELj100EEvPKT0_PS1_S1_,comdat
	.protected	_Z6kernelI14inclusive_scanfLj16ELj100EEvPKT0_PS1_S1_ ; -- Begin function _Z6kernelI14inclusive_scanfLj16ELj100EEvPKT0_PS1_S1_
	.globl	_Z6kernelI14inclusive_scanfLj16ELj100EEvPKT0_PS1_S1_
	.p2align	8
	.type	_Z6kernelI14inclusive_scanfLj16ELj100EEvPKT0_PS1_S1_,@function
_Z6kernelI14inclusive_scanfLj16ELj100EEvPKT0_PS1_S1_: ; @_Z6kernelI14inclusive_scanfLj16ELj100EEvPKT0_PS1_S1_
; %bb.0:
	s_clause 0x1
	s_load_b32 s2, s[0:1], 0x24
	s_load_b128 s[4:7], s[0:1], 0x0
	s_movk_i32 s3, 0x64
	s_waitcnt lgkmcnt(0)
	s_and_b32 s0, s2, 0xffff
	s_delay_alu instid0(SALU_CYCLE_1) | instskip(SKIP_1) | instid1(VALU_DEP_1)
	v_mad_u64_u32 v[1:2], null, s15, s0, v[0:1]
	v_mov_b32_e32 v2, 0
	v_lshlrev_b64 v[0:1], 2, v[1:2]
	s_delay_alu instid0(VALU_DEP_1) | instskip(NEXT) | instid1(VALU_DEP_2)
	v_add_co_u32 v2, vcc_lo, s4, v0
	v_add_co_ci_u32_e32 v3, vcc_lo, s5, v1, vcc_lo
	global_load_b32 v2, v[2:3], off
	v_mbcnt_lo_u32_b32 v3, -1, 0
	s_delay_alu instid0(VALU_DEP_1) | instskip(NEXT) | instid1(VALU_DEP_1)
	v_and_b32_e32 v3, 15, v3
	v_cmp_eq_u32_e32 vcc_lo, 0, v3
	v_cmp_lt_u32_e64 s0, 1, v3
	v_cmp_lt_u32_e64 s1, 3, v3
	v_cmp_lt_u32_e64 s2, 7, v3
	.p2align	6
.LBB8_1:                                ; =>This Inner Loop Header: Depth=1
	s_waitcnt vmcnt(0)
	s_delay_alu instid0(VALU_DEP_1) | instskip(SKIP_1) | instid1(SALU_CYCLE_1)
	v_mov_b32_dpp v3, v2 row_shr:1 row_mask:0xf bank_mask:0xf
	s_add_i32 s3, s3, -1
	s_cmp_lg_u32 s3, 0
	s_delay_alu instid0(VALU_DEP_1) | instskip(NEXT) | instid1(VALU_DEP_1)
	v_add_f32_e32 v3, v2, v3
	v_cndmask_b32_e32 v2, v3, v2, vcc_lo
	s_delay_alu instid0(VALU_DEP_1) | instskip(NEXT) | instid1(VALU_DEP_1)
	v_mov_b32_dpp v3, v2 row_shr:2 row_mask:0xf bank_mask:0xf
	v_add_f32_e32 v3, v2, v3
	s_delay_alu instid0(VALU_DEP_1) | instskip(NEXT) | instid1(VALU_DEP_1)
	v_cndmask_b32_e64 v2, v2, v3, s0
	v_mov_b32_dpp v3, v2 row_shr:4 row_mask:0xf bank_mask:0xf
	s_delay_alu instid0(VALU_DEP_1) | instskip(NEXT) | instid1(VALU_DEP_1)
	v_add_f32_e32 v3, v2, v3
	v_cndmask_b32_e64 v2, v2, v3, s1
	s_delay_alu instid0(VALU_DEP_1) | instskip(NEXT) | instid1(VALU_DEP_1)
	v_mov_b32_dpp v3, v2 row_shr:8 row_mask:0xf bank_mask:0xf
	v_add_f32_e32 v3, v2, v3
	s_delay_alu instid0(VALU_DEP_1)
	v_cndmask_b32_e64 v2, v2, v3, s2
	s_cbranch_scc1 .LBB8_1
; %bb.2:
	v_add_co_u32 v0, vcc_lo, s6, v0
	v_add_co_ci_u32_e32 v1, vcc_lo, s7, v1, vcc_lo
	global_store_b32 v[0:1], v2, off
	s_nop 0
	s_sendmsg sendmsg(MSG_DEALLOC_VGPRS)
	s_endpgm
	.section	.rodata,"a",@progbits
	.p2align	6, 0x0
	.amdhsa_kernel _Z6kernelI14inclusive_scanfLj16ELj100EEvPKT0_PS1_S1_
		.amdhsa_group_segment_fixed_size 0
		.amdhsa_private_segment_fixed_size 0
		.amdhsa_kernarg_size 280
		.amdhsa_user_sgpr_count 15
		.amdhsa_user_sgpr_dispatch_ptr 0
		.amdhsa_user_sgpr_queue_ptr 0
		.amdhsa_user_sgpr_kernarg_segment_ptr 1
		.amdhsa_user_sgpr_dispatch_id 0
		.amdhsa_user_sgpr_private_segment_size 0
		.amdhsa_wavefront_size32 1
		.amdhsa_uses_dynamic_stack 0
		.amdhsa_enable_private_segment 0
		.amdhsa_system_sgpr_workgroup_id_x 1
		.amdhsa_system_sgpr_workgroup_id_y 0
		.amdhsa_system_sgpr_workgroup_id_z 0
		.amdhsa_system_sgpr_workgroup_info 0
		.amdhsa_system_vgpr_workitem_id 0
		.amdhsa_next_free_vgpr 4
		.amdhsa_next_free_sgpr 16
		.amdhsa_reserve_vcc 1
		.amdhsa_float_round_mode_32 0
		.amdhsa_float_round_mode_16_64 0
		.amdhsa_float_denorm_mode_32 3
		.amdhsa_float_denorm_mode_16_64 3
		.amdhsa_dx10_clamp 1
		.amdhsa_ieee_mode 1
		.amdhsa_fp16_overflow 0
		.amdhsa_workgroup_processor_mode 1
		.amdhsa_memory_ordered 1
		.amdhsa_forward_progress 0
		.amdhsa_shared_vgpr_count 0
		.amdhsa_exception_fp_ieee_invalid_op 0
		.amdhsa_exception_fp_denorm_src 0
		.amdhsa_exception_fp_ieee_div_zero 0
		.amdhsa_exception_fp_ieee_overflow 0
		.amdhsa_exception_fp_ieee_underflow 0
		.amdhsa_exception_fp_ieee_inexact 0
		.amdhsa_exception_int_div_zero 0
	.end_amdhsa_kernel
	.section	.text._Z6kernelI14inclusive_scanfLj16ELj100EEvPKT0_PS1_S1_,"axG",@progbits,_Z6kernelI14inclusive_scanfLj16ELj100EEvPKT0_PS1_S1_,comdat
.Lfunc_end8:
	.size	_Z6kernelI14inclusive_scanfLj16ELj100EEvPKT0_PS1_S1_, .Lfunc_end8-_Z6kernelI14inclusive_scanfLj16ELj100EEvPKT0_PS1_S1_
                                        ; -- End function
	.section	.AMDGPU.csdata,"",@progbits
; Kernel info:
; codeLenInByte = 280
; NumSgprs: 18
; NumVgprs: 4
; ScratchSize: 0
; MemoryBound: 0
; FloatMode: 240
; IeeeMode: 1
; LDSByteSize: 0 bytes/workgroup (compile time only)
; SGPRBlocks: 2
; VGPRBlocks: 0
; NumSGPRsForWavesPerEU: 18
; NumVGPRsForWavesPerEU: 4
; Occupancy: 16
; WaveLimiterHint : 0
; COMPUTE_PGM_RSRC2:SCRATCH_EN: 0
; COMPUTE_PGM_RSRC2:USER_SGPR: 15
; COMPUTE_PGM_RSRC2:TRAP_HANDLER: 0
; COMPUTE_PGM_RSRC2:TGID_X_EN: 1
; COMPUTE_PGM_RSRC2:TGID_Y_EN: 0
; COMPUTE_PGM_RSRC2:TGID_Z_EN: 0
; COMPUTE_PGM_RSRC2:TIDIG_COMP_CNT: 0
	.section	.text._Z6kernelI14inclusive_scanfLj63ELj100EEvPKT0_PS1_S1_,"axG",@progbits,_Z6kernelI14inclusive_scanfLj63ELj100EEvPKT0_PS1_S1_,comdat
	.protected	_Z6kernelI14inclusive_scanfLj63ELj100EEvPKT0_PS1_S1_ ; -- Begin function _Z6kernelI14inclusive_scanfLj63ELj100EEvPKT0_PS1_S1_
	.globl	_Z6kernelI14inclusive_scanfLj63ELj100EEvPKT0_PS1_S1_
	.p2align	8
	.type	_Z6kernelI14inclusive_scanfLj63ELj100EEvPKT0_PS1_S1_,@function
_Z6kernelI14inclusive_scanfLj63ELj100EEvPKT0_PS1_S1_: ; @_Z6kernelI14inclusive_scanfLj63ELj100EEvPKT0_PS1_S1_
; %bb.0:
	s_clause 0x1
	s_load_b32 s4, s[0:1], 0x24
	s_load_b128 s[0:3], s[0:1], 0x0
	s_waitcnt lgkmcnt(0)
	s_and_b32 s4, s4, 0xffff
	s_delay_alu instid0(SALU_CYCLE_1) | instskip(SKIP_1) | instid1(VALU_DEP_1)
	v_mad_u64_u32 v[1:2], null, s15, s4, v[0:1]
	v_mov_b32_e32 v2, 0
	v_lshlrev_b64 v[0:1], 2, v[1:2]
	s_delay_alu instid0(VALU_DEP_1) | instskip(NEXT) | instid1(VALU_DEP_2)
	v_add_co_u32 v2, vcc_lo, s0, v0
	v_add_co_ci_u32_e32 v3, vcc_lo, s1, v1, vcc_lo
	v_add_co_u32 v0, vcc_lo, s2, v0
	v_add_co_ci_u32_e32 v1, vcc_lo, s3, v1, vcc_lo
	global_load_b32 v2, v[2:3], off
	s_waitcnt vmcnt(0)
	global_store_b32 v[0:1], v2, off
	s_nop 0
	s_sendmsg sendmsg(MSG_DEALLOC_VGPRS)
	s_endpgm
	.section	.rodata,"a",@progbits
	.p2align	6, 0x0
	.amdhsa_kernel _Z6kernelI14inclusive_scanfLj63ELj100EEvPKT0_PS1_S1_
		.amdhsa_group_segment_fixed_size 0
		.amdhsa_private_segment_fixed_size 0
		.amdhsa_kernarg_size 280
		.amdhsa_user_sgpr_count 15
		.amdhsa_user_sgpr_dispatch_ptr 0
		.amdhsa_user_sgpr_queue_ptr 0
		.amdhsa_user_sgpr_kernarg_segment_ptr 1
		.amdhsa_user_sgpr_dispatch_id 0
		.amdhsa_user_sgpr_private_segment_size 0
		.amdhsa_wavefront_size32 1
		.amdhsa_uses_dynamic_stack 0
		.amdhsa_enable_private_segment 0
		.amdhsa_system_sgpr_workgroup_id_x 1
		.amdhsa_system_sgpr_workgroup_id_y 0
		.amdhsa_system_sgpr_workgroup_id_z 0
		.amdhsa_system_sgpr_workgroup_info 0
		.amdhsa_system_vgpr_workitem_id 0
		.amdhsa_next_free_vgpr 4
		.amdhsa_next_free_sgpr 16
		.amdhsa_reserve_vcc 1
		.amdhsa_float_round_mode_32 0
		.amdhsa_float_round_mode_16_64 0
		.amdhsa_float_denorm_mode_32 3
		.amdhsa_float_denorm_mode_16_64 3
		.amdhsa_dx10_clamp 1
		.amdhsa_ieee_mode 1
		.amdhsa_fp16_overflow 0
		.amdhsa_workgroup_processor_mode 1
		.amdhsa_memory_ordered 1
		.amdhsa_forward_progress 0
		.amdhsa_shared_vgpr_count 0
		.amdhsa_exception_fp_ieee_invalid_op 0
		.amdhsa_exception_fp_denorm_src 0
		.amdhsa_exception_fp_ieee_div_zero 0
		.amdhsa_exception_fp_ieee_overflow 0
		.amdhsa_exception_fp_ieee_underflow 0
		.amdhsa_exception_fp_ieee_inexact 0
		.amdhsa_exception_int_div_zero 0
	.end_amdhsa_kernel
	.section	.text._Z6kernelI14inclusive_scanfLj63ELj100EEvPKT0_PS1_S1_,"axG",@progbits,_Z6kernelI14inclusive_scanfLj63ELj100EEvPKT0_PS1_S1_,comdat
.Lfunc_end9:
	.size	_Z6kernelI14inclusive_scanfLj63ELj100EEvPKT0_PS1_S1_, .Lfunc_end9-_Z6kernelI14inclusive_scanfLj63ELj100EEvPKT0_PS1_S1_
                                        ; -- End function
	.section	.AMDGPU.csdata,"",@progbits
; Kernel info:
; codeLenInByte = 116
; NumSgprs: 18
; NumVgprs: 4
; ScratchSize: 0
; MemoryBound: 0
; FloatMode: 240
; IeeeMode: 1
; LDSByteSize: 0 bytes/workgroup (compile time only)
; SGPRBlocks: 2
; VGPRBlocks: 0
; NumSGPRsForWavesPerEU: 18
; NumVGPRsForWavesPerEU: 4
; Occupancy: 16
; WaveLimiterHint : 0
; COMPUTE_PGM_RSRC2:SCRATCH_EN: 0
; COMPUTE_PGM_RSRC2:USER_SGPR: 15
; COMPUTE_PGM_RSRC2:TRAP_HANDLER: 0
; COMPUTE_PGM_RSRC2:TGID_X_EN: 1
; COMPUTE_PGM_RSRC2:TGID_Y_EN: 0
; COMPUTE_PGM_RSRC2:TGID_Z_EN: 0
; COMPUTE_PGM_RSRC2:TIDIG_COMP_CNT: 0
	.section	.text._Z6kernelI14inclusive_scanfLj31ELj100EEvPKT0_PS1_S1_,"axG",@progbits,_Z6kernelI14inclusive_scanfLj31ELj100EEvPKT0_PS1_S1_,comdat
	.protected	_Z6kernelI14inclusive_scanfLj31ELj100EEvPKT0_PS1_S1_ ; -- Begin function _Z6kernelI14inclusive_scanfLj31ELj100EEvPKT0_PS1_S1_
	.globl	_Z6kernelI14inclusive_scanfLj31ELj100EEvPKT0_PS1_S1_
	.p2align	8
	.type	_Z6kernelI14inclusive_scanfLj31ELj100EEvPKT0_PS1_S1_,@function
_Z6kernelI14inclusive_scanfLj31ELj100EEvPKT0_PS1_S1_: ; @_Z6kernelI14inclusive_scanfLj31ELj100EEvPKT0_PS1_S1_
; %bb.0:
	s_clause 0x1
	s_load_b32 s2, s[0:1], 0x24
	s_load_b128 s[4:7], s[0:1], 0x0
	s_waitcnt lgkmcnt(0)
	s_and_b32 s0, s2, 0xffff
	s_delay_alu instid0(SALU_CYCLE_1) | instskip(SKIP_1) | instid1(VALU_DEP_1)
	v_mad_u64_u32 v[1:2], null, s15, s0, v[0:1]
	v_mov_b32_e32 v2, 0
	v_lshlrev_b64 v[0:1], 2, v[1:2]
	s_delay_alu instid0(VALU_DEP_1) | instskip(NEXT) | instid1(VALU_DEP_2)
	v_add_co_u32 v2, vcc_lo, s4, v0
	v_add_co_ci_u32_e32 v3, vcc_lo, s5, v1, vcc_lo
	s_movk_i32 s4, 0x64
	global_load_b32 v2, v[2:3], off
	v_mbcnt_lo_u32_b32 v3, -1, 0
	s_delay_alu instid0(VALU_DEP_1) | instskip(NEXT) | instid1(VALU_DEP_1)
	v_mul_hi_u32 v4, 0x8421085, v3
	v_mul_u32_u24_e32 v4, 31, v4
	s_delay_alu instid0(VALU_DEP_1) | instskip(NEXT) | instid1(VALU_DEP_1)
	v_sub_nc_u32_e32 v4, v3, v4
	v_lshlrev_b32_e32 v3, 2, v4
	v_cmp_ne_u32_e32 vcc_lo, 0, v4
	v_cmp_lt_u32_e64 s0, 1, v4
	v_cmp_lt_u32_e64 s1, 3, v4
	;; [unrolled: 1-line block ×4, first 2 shown]
	v_add_nc_u32_e32 v4, -4, v3
	v_add_nc_u32_e32 v5, -8, v3
	;; [unrolled: 1-line block ×3, first 2 shown]
	v_subrev_nc_u32_e32 v7, 32, v3
	v_subrev_nc_u32_e32 v8, 64, v3
	s_branch .LBB10_2
.LBB10_1:                               ;   in Loop: Header=BB10_2 Depth=1
	s_or_b32 exec_lo, exec_lo, s5
	s_add_i32 s4, s4, -1
	s_delay_alu instid0(SALU_CYCLE_1)
	s_cmp_lg_u32 s4, 0
	; wave barrier
	s_cbranch_scc0 .LBB10_22
.LBB10_2:                               ; =>This Inner Loop Header: Depth=1
	s_waitcnt vmcnt(0)
	ds_store_b32 v3, v2
	; wave barrier
	s_and_saveexec_b32 s5, vcc_lo
	s_cbranch_execz .LBB10_4
; %bb.3:                                ;   in Loop: Header=BB10_2 Depth=1
	ds_load_b32 v9, v4
	s_waitcnt lgkmcnt(0)
	v_add_f32_e32 v2, v2, v9
.LBB10_4:                               ;   in Loop: Header=BB10_2 Depth=1
	s_or_b32 exec_lo, exec_lo, s5
	; wave barrier
	s_and_saveexec_b32 s5, vcc_lo
	s_cbranch_execz .LBB10_6
; %bb.5:                                ;   in Loop: Header=BB10_2 Depth=1
	ds_store_b32 v3, v2
.LBB10_6:                               ;   in Loop: Header=BB10_2 Depth=1
	s_or_b32 exec_lo, exec_lo, s5
	; wave barrier
	s_and_saveexec_b32 s5, s0
	s_cbranch_execz .LBB10_8
; %bb.7:                                ;   in Loop: Header=BB10_2 Depth=1
	ds_load_b32 v9, v5
	s_waitcnt lgkmcnt(0)
	v_add_f32_e32 v2, v2, v9
.LBB10_8:                               ;   in Loop: Header=BB10_2 Depth=1
	s_or_b32 exec_lo, exec_lo, s5
	; wave barrier
	s_and_saveexec_b32 s5, s0
	s_cbranch_execz .LBB10_10
; %bb.9:                                ;   in Loop: Header=BB10_2 Depth=1
	ds_store_b32 v3, v2
.LBB10_10:                              ;   in Loop: Header=BB10_2 Depth=1
	s_or_b32 exec_lo, exec_lo, s5
	; wave barrier
	s_and_saveexec_b32 s5, s1
	s_cbranch_execz .LBB10_12
; %bb.11:                               ;   in Loop: Header=BB10_2 Depth=1
	ds_load_b32 v9, v6
	s_waitcnt lgkmcnt(0)
	v_add_f32_e32 v2, v2, v9
.LBB10_12:                              ;   in Loop: Header=BB10_2 Depth=1
	s_or_b32 exec_lo, exec_lo, s5
	; wave barrier
	s_and_saveexec_b32 s5, s1
	s_cbranch_execz .LBB10_14
; %bb.13:                               ;   in Loop: Header=BB10_2 Depth=1
	ds_store_b32 v3, v2
.LBB10_14:                              ;   in Loop: Header=BB10_2 Depth=1
	s_or_b32 exec_lo, exec_lo, s5
	; wave barrier
	s_and_saveexec_b32 s5, s2
	s_cbranch_execz .LBB10_16
; %bb.15:                               ;   in Loop: Header=BB10_2 Depth=1
	ds_load_b32 v9, v7
	s_waitcnt lgkmcnt(0)
	v_add_f32_e32 v2, v2, v9
.LBB10_16:                              ;   in Loop: Header=BB10_2 Depth=1
	s_or_b32 exec_lo, exec_lo, s5
	; wave barrier
	s_and_saveexec_b32 s5, s2
	s_cbranch_execz .LBB10_18
; %bb.17:                               ;   in Loop: Header=BB10_2 Depth=1
	ds_store_b32 v3, v2
.LBB10_18:                              ;   in Loop: Header=BB10_2 Depth=1
	s_or_b32 exec_lo, exec_lo, s5
	; wave barrier
	s_and_saveexec_b32 s5, s3
	s_cbranch_execz .LBB10_20
; %bb.19:                               ;   in Loop: Header=BB10_2 Depth=1
	ds_load_b32 v9, v8
	s_waitcnt lgkmcnt(0)
	v_add_f32_e32 v2, v2, v9
.LBB10_20:                              ;   in Loop: Header=BB10_2 Depth=1
	s_or_b32 exec_lo, exec_lo, s5
	; wave barrier
	s_and_saveexec_b32 s5, s3
	s_cbranch_execz .LBB10_1
; %bb.21:                               ;   in Loop: Header=BB10_2 Depth=1
	ds_store_b32 v3, v2
	s_branch .LBB10_1
.LBB10_22:
	v_add_co_u32 v0, vcc_lo, s6, v0
	v_add_co_ci_u32_e32 v1, vcc_lo, s7, v1, vcc_lo
	global_store_b32 v[0:1], v2, off
	s_nop 0
	s_sendmsg sendmsg(MSG_DEALLOC_VGPRS)
	s_endpgm
	.section	.rodata,"a",@progbits
	.p2align	6, 0x0
	.amdhsa_kernel _Z6kernelI14inclusive_scanfLj31ELj100EEvPKT0_PS1_S1_
		.amdhsa_group_segment_fixed_size 124
		.amdhsa_private_segment_fixed_size 0
		.amdhsa_kernarg_size 280
		.amdhsa_user_sgpr_count 15
		.amdhsa_user_sgpr_dispatch_ptr 0
		.amdhsa_user_sgpr_queue_ptr 0
		.amdhsa_user_sgpr_kernarg_segment_ptr 1
		.amdhsa_user_sgpr_dispatch_id 0
		.amdhsa_user_sgpr_private_segment_size 0
		.amdhsa_wavefront_size32 1
		.amdhsa_uses_dynamic_stack 0
		.amdhsa_enable_private_segment 0
		.amdhsa_system_sgpr_workgroup_id_x 1
		.amdhsa_system_sgpr_workgroup_id_y 0
		.amdhsa_system_sgpr_workgroup_id_z 0
		.amdhsa_system_sgpr_workgroup_info 0
		.amdhsa_system_vgpr_workitem_id 0
		.amdhsa_next_free_vgpr 10
		.amdhsa_next_free_sgpr 16
		.amdhsa_reserve_vcc 1
		.amdhsa_float_round_mode_32 0
		.amdhsa_float_round_mode_16_64 0
		.amdhsa_float_denorm_mode_32 3
		.amdhsa_float_denorm_mode_16_64 3
		.amdhsa_dx10_clamp 1
		.amdhsa_ieee_mode 1
		.amdhsa_fp16_overflow 0
		.amdhsa_workgroup_processor_mode 1
		.amdhsa_memory_ordered 1
		.amdhsa_forward_progress 0
		.amdhsa_shared_vgpr_count 0
		.amdhsa_exception_fp_ieee_invalid_op 0
		.amdhsa_exception_fp_denorm_src 0
		.amdhsa_exception_fp_ieee_div_zero 0
		.amdhsa_exception_fp_ieee_overflow 0
		.amdhsa_exception_fp_ieee_underflow 0
		.amdhsa_exception_fp_ieee_inexact 0
		.amdhsa_exception_int_div_zero 0
	.end_amdhsa_kernel
	.section	.text._Z6kernelI14inclusive_scanfLj31ELj100EEvPKT0_PS1_S1_,"axG",@progbits,_Z6kernelI14inclusive_scanfLj31ELj100EEvPKT0_PS1_S1_,comdat
.Lfunc_end10:
	.size	_Z6kernelI14inclusive_scanfLj31ELj100EEvPKT0_PS1_S1_, .Lfunc_end10-_Z6kernelI14inclusive_scanfLj31ELj100EEvPKT0_PS1_S1_
                                        ; -- End function
	.section	.AMDGPU.csdata,"",@progbits
; Kernel info:
; codeLenInByte = 488
; NumSgprs: 18
; NumVgprs: 10
; ScratchSize: 0
; MemoryBound: 0
; FloatMode: 240
; IeeeMode: 1
; LDSByteSize: 124 bytes/workgroup (compile time only)
; SGPRBlocks: 2
; VGPRBlocks: 1
; NumSGPRsForWavesPerEU: 18
; NumVGPRsForWavesPerEU: 10
; Occupancy: 16
; WaveLimiterHint : 0
; COMPUTE_PGM_RSRC2:SCRATCH_EN: 0
; COMPUTE_PGM_RSRC2:USER_SGPR: 15
; COMPUTE_PGM_RSRC2:TRAP_HANDLER: 0
; COMPUTE_PGM_RSRC2:TGID_X_EN: 1
; COMPUTE_PGM_RSRC2:TGID_Y_EN: 0
; COMPUTE_PGM_RSRC2:TGID_Z_EN: 0
; COMPUTE_PGM_RSRC2:TIDIG_COMP_CNT: 0
	.section	.text._Z6kernelI14inclusive_scanfLj15ELj100EEvPKT0_PS1_S1_,"axG",@progbits,_Z6kernelI14inclusive_scanfLj15ELj100EEvPKT0_PS1_S1_,comdat
	.protected	_Z6kernelI14inclusive_scanfLj15ELj100EEvPKT0_PS1_S1_ ; -- Begin function _Z6kernelI14inclusive_scanfLj15ELj100EEvPKT0_PS1_S1_
	.globl	_Z6kernelI14inclusive_scanfLj15ELj100EEvPKT0_PS1_S1_
	.p2align	8
	.type	_Z6kernelI14inclusive_scanfLj15ELj100EEvPKT0_PS1_S1_,@function
_Z6kernelI14inclusive_scanfLj15ELj100EEvPKT0_PS1_S1_: ; @_Z6kernelI14inclusive_scanfLj15ELj100EEvPKT0_PS1_S1_
; %bb.0:
	s_clause 0x1
	s_load_b32 s2, s[0:1], 0x24
	s_load_b128 s[4:7], s[0:1], 0x0
	s_movk_i32 s3, 0x64
	s_waitcnt lgkmcnt(0)
	s_and_b32 s0, s2, 0xffff
	s_delay_alu instid0(SALU_CYCLE_1) | instskip(SKIP_1) | instid1(VALU_DEP_1)
	v_mad_u64_u32 v[1:2], null, s15, s0, v[0:1]
	v_mov_b32_e32 v2, 0
	v_lshlrev_b64 v[0:1], 2, v[1:2]
	s_delay_alu instid0(VALU_DEP_1) | instskip(NEXT) | instid1(VALU_DEP_2)
	v_add_co_u32 v2, vcc_lo, s4, v0
	v_add_co_ci_u32_e32 v3, vcc_lo, s5, v1, vcc_lo
	global_load_b32 v2, v[2:3], off
	v_mbcnt_lo_u32_b32 v3, -1, 0
	s_delay_alu instid0(VALU_DEP_1) | instskip(NEXT) | instid1(VALU_DEP_1)
	v_mul_hi_u32 v4, 0x11111112, v3
	v_mul_u32_u24_e32 v4, 15, v4
	s_delay_alu instid0(VALU_DEP_1) | instskip(NEXT) | instid1(VALU_DEP_1)
	v_sub_nc_u32_e32 v4, v3, v4
	v_lshlrev_b32_e32 v3, 2, v4
	v_cmp_ne_u32_e32 vcc_lo, 0, v4
	v_cmp_lt_u32_e64 s0, 1, v4
	v_cmp_lt_u32_e64 s1, 3, v4
	;; [unrolled: 1-line block ×3, first 2 shown]
	v_add_nc_u32_e32 v4, -4, v3
	v_add_nc_u32_e32 v5, -8, v3
	;; [unrolled: 1-line block ×3, first 2 shown]
	v_subrev_nc_u32_e32 v7, 32, v3
	s_branch .LBB11_2
.LBB11_1:                               ;   in Loop: Header=BB11_2 Depth=1
	s_or_b32 exec_lo, exec_lo, s4
	s_add_i32 s3, s3, -1
	s_delay_alu instid0(SALU_CYCLE_1)
	s_cmp_lg_u32 s3, 0
	; wave barrier
	s_cbranch_scc0 .LBB11_18
.LBB11_2:                               ; =>This Inner Loop Header: Depth=1
	s_waitcnt vmcnt(0)
	ds_store_b32 v3, v2
	; wave barrier
	s_and_saveexec_b32 s4, vcc_lo
	s_cbranch_execz .LBB11_4
; %bb.3:                                ;   in Loop: Header=BB11_2 Depth=1
	ds_load_b32 v8, v4
	s_waitcnt lgkmcnt(0)
	v_add_f32_e32 v2, v2, v8
.LBB11_4:                               ;   in Loop: Header=BB11_2 Depth=1
	s_or_b32 exec_lo, exec_lo, s4
	; wave barrier
	s_and_saveexec_b32 s4, vcc_lo
	s_cbranch_execz .LBB11_6
; %bb.5:                                ;   in Loop: Header=BB11_2 Depth=1
	ds_store_b32 v3, v2
.LBB11_6:                               ;   in Loop: Header=BB11_2 Depth=1
	s_or_b32 exec_lo, exec_lo, s4
	; wave barrier
	s_and_saveexec_b32 s4, s0
	s_cbranch_execz .LBB11_8
; %bb.7:                                ;   in Loop: Header=BB11_2 Depth=1
	ds_load_b32 v8, v5
	s_waitcnt lgkmcnt(0)
	v_add_f32_e32 v2, v2, v8
.LBB11_8:                               ;   in Loop: Header=BB11_2 Depth=1
	s_or_b32 exec_lo, exec_lo, s4
	; wave barrier
	s_and_saveexec_b32 s4, s0
	s_cbranch_execz .LBB11_10
; %bb.9:                                ;   in Loop: Header=BB11_2 Depth=1
	ds_store_b32 v3, v2
.LBB11_10:                              ;   in Loop: Header=BB11_2 Depth=1
	s_or_b32 exec_lo, exec_lo, s4
	; wave barrier
	s_and_saveexec_b32 s4, s1
	s_cbranch_execz .LBB11_12
; %bb.11:                               ;   in Loop: Header=BB11_2 Depth=1
	ds_load_b32 v8, v6
	s_waitcnt lgkmcnt(0)
	v_add_f32_e32 v2, v2, v8
.LBB11_12:                              ;   in Loop: Header=BB11_2 Depth=1
	s_or_b32 exec_lo, exec_lo, s4
	; wave barrier
	s_and_saveexec_b32 s4, s1
	s_cbranch_execz .LBB11_14
; %bb.13:                               ;   in Loop: Header=BB11_2 Depth=1
	ds_store_b32 v3, v2
.LBB11_14:                              ;   in Loop: Header=BB11_2 Depth=1
	s_or_b32 exec_lo, exec_lo, s4
	; wave barrier
	s_and_saveexec_b32 s4, s2
	s_cbranch_execz .LBB11_16
; %bb.15:                               ;   in Loop: Header=BB11_2 Depth=1
	ds_load_b32 v8, v7
	s_waitcnt lgkmcnt(0)
	v_add_f32_e32 v2, v2, v8
.LBB11_16:                              ;   in Loop: Header=BB11_2 Depth=1
	s_or_b32 exec_lo, exec_lo, s4
	; wave barrier
	s_and_saveexec_b32 s4, s2
	s_cbranch_execz .LBB11_1
; %bb.17:                               ;   in Loop: Header=BB11_2 Depth=1
	ds_store_b32 v3, v2
	s_branch .LBB11_1
.LBB11_18:
	v_add_co_u32 v0, vcc_lo, s6, v0
	v_add_co_ci_u32_e32 v1, vcc_lo, s7, v1, vcc_lo
	global_store_b32 v[0:1], v2, off
	s_nop 0
	s_sendmsg sendmsg(MSG_DEALLOC_VGPRS)
	s_endpgm
	.section	.rodata,"a",@progbits
	.p2align	6, 0x0
	.amdhsa_kernel _Z6kernelI14inclusive_scanfLj15ELj100EEvPKT0_PS1_S1_
		.amdhsa_group_segment_fixed_size 60
		.amdhsa_private_segment_fixed_size 0
		.amdhsa_kernarg_size 280
		.amdhsa_user_sgpr_count 15
		.amdhsa_user_sgpr_dispatch_ptr 0
		.amdhsa_user_sgpr_queue_ptr 0
		.amdhsa_user_sgpr_kernarg_segment_ptr 1
		.amdhsa_user_sgpr_dispatch_id 0
		.amdhsa_user_sgpr_private_segment_size 0
		.amdhsa_wavefront_size32 1
		.amdhsa_uses_dynamic_stack 0
		.amdhsa_enable_private_segment 0
		.amdhsa_system_sgpr_workgroup_id_x 1
		.amdhsa_system_sgpr_workgroup_id_y 0
		.amdhsa_system_sgpr_workgroup_id_z 0
		.amdhsa_system_sgpr_workgroup_info 0
		.amdhsa_system_vgpr_workitem_id 0
		.amdhsa_next_free_vgpr 9
		.amdhsa_next_free_sgpr 16
		.amdhsa_reserve_vcc 1
		.amdhsa_float_round_mode_32 0
		.amdhsa_float_round_mode_16_64 0
		.amdhsa_float_denorm_mode_32 3
		.amdhsa_float_denorm_mode_16_64 3
		.amdhsa_dx10_clamp 1
		.amdhsa_ieee_mode 1
		.amdhsa_fp16_overflow 0
		.amdhsa_workgroup_processor_mode 1
		.amdhsa_memory_ordered 1
		.amdhsa_forward_progress 0
		.amdhsa_shared_vgpr_count 0
		.amdhsa_exception_fp_ieee_invalid_op 0
		.amdhsa_exception_fp_denorm_src 0
		.amdhsa_exception_fp_ieee_div_zero 0
		.amdhsa_exception_fp_ieee_overflow 0
		.amdhsa_exception_fp_ieee_underflow 0
		.amdhsa_exception_fp_ieee_inexact 0
		.amdhsa_exception_int_div_zero 0
	.end_amdhsa_kernel
	.section	.text._Z6kernelI14inclusive_scanfLj15ELj100EEvPKT0_PS1_S1_,"axG",@progbits,_Z6kernelI14inclusive_scanfLj15ELj100EEvPKT0_PS1_S1_,comdat
.Lfunc_end11:
	.size	_Z6kernelI14inclusive_scanfLj15ELj100EEvPKT0_PS1_S1_, .Lfunc_end11-_Z6kernelI14inclusive_scanfLj15ELj100EEvPKT0_PS1_S1_
                                        ; -- End function
	.section	.AMDGPU.csdata,"",@progbits
; Kernel info:
; codeLenInByte = 428
; NumSgprs: 18
; NumVgprs: 9
; ScratchSize: 0
; MemoryBound: 0
; FloatMode: 240
; IeeeMode: 1
; LDSByteSize: 60 bytes/workgroup (compile time only)
; SGPRBlocks: 2
; VGPRBlocks: 1
; NumSGPRsForWavesPerEU: 18
; NumVGPRsForWavesPerEU: 9
; Occupancy: 16
; WaveLimiterHint : 0
; COMPUTE_PGM_RSRC2:SCRATCH_EN: 0
; COMPUTE_PGM_RSRC2:USER_SGPR: 15
; COMPUTE_PGM_RSRC2:TRAP_HANDLER: 0
; COMPUTE_PGM_RSRC2:TGID_X_EN: 1
; COMPUTE_PGM_RSRC2:TGID_Y_EN: 0
; COMPUTE_PGM_RSRC2:TGID_Z_EN: 0
; COMPUTE_PGM_RSRC2:TIDIG_COMP_CNT: 0
	.section	.text._Z6kernelI14inclusive_scandLj64ELj100EEvPKT0_PS1_S1_,"axG",@progbits,_Z6kernelI14inclusive_scandLj64ELj100EEvPKT0_PS1_S1_,comdat
	.protected	_Z6kernelI14inclusive_scandLj64ELj100EEvPKT0_PS1_S1_ ; -- Begin function _Z6kernelI14inclusive_scandLj64ELj100EEvPKT0_PS1_S1_
	.globl	_Z6kernelI14inclusive_scandLj64ELj100EEvPKT0_PS1_S1_
	.p2align	8
	.type	_Z6kernelI14inclusive_scandLj64ELj100EEvPKT0_PS1_S1_,@function
_Z6kernelI14inclusive_scandLj64ELj100EEvPKT0_PS1_S1_: ; @_Z6kernelI14inclusive_scandLj64ELj100EEvPKT0_PS1_S1_
; %bb.0:
	s_clause 0x1
	s_load_b32 s4, s[0:1], 0x24
	s_load_b128 s[0:3], s[0:1], 0x0
	s_waitcnt lgkmcnt(0)
	s_and_b32 s4, s4, 0xffff
	s_delay_alu instid0(SALU_CYCLE_1) | instskip(SKIP_1) | instid1(VALU_DEP_1)
	v_mad_u64_u32 v[1:2], null, s15, s4, v[0:1]
	v_mov_b32_e32 v2, 0
	v_lshlrev_b64 v[0:1], 3, v[1:2]
	s_delay_alu instid0(VALU_DEP_1) | instskip(NEXT) | instid1(VALU_DEP_2)
	v_add_co_u32 v2, vcc_lo, s0, v0
	v_add_co_ci_u32_e32 v3, vcc_lo, s1, v1, vcc_lo
	v_add_co_u32 v0, vcc_lo, s2, v0
	v_add_co_ci_u32_e32 v1, vcc_lo, s3, v1, vcc_lo
	global_load_b64 v[2:3], v[2:3], off
	s_waitcnt vmcnt(0)
	global_store_b64 v[0:1], v[2:3], off
	s_nop 0
	s_sendmsg sendmsg(MSG_DEALLOC_VGPRS)
	s_endpgm
	.section	.rodata,"a",@progbits
	.p2align	6, 0x0
	.amdhsa_kernel _Z6kernelI14inclusive_scandLj64ELj100EEvPKT0_PS1_S1_
		.amdhsa_group_segment_fixed_size 0
		.amdhsa_private_segment_fixed_size 0
		.amdhsa_kernarg_size 280
		.amdhsa_user_sgpr_count 15
		.amdhsa_user_sgpr_dispatch_ptr 0
		.amdhsa_user_sgpr_queue_ptr 0
		.amdhsa_user_sgpr_kernarg_segment_ptr 1
		.amdhsa_user_sgpr_dispatch_id 0
		.amdhsa_user_sgpr_private_segment_size 0
		.amdhsa_wavefront_size32 1
		.amdhsa_uses_dynamic_stack 0
		.amdhsa_enable_private_segment 0
		.amdhsa_system_sgpr_workgroup_id_x 1
		.amdhsa_system_sgpr_workgroup_id_y 0
		.amdhsa_system_sgpr_workgroup_id_z 0
		.amdhsa_system_sgpr_workgroup_info 0
		.amdhsa_system_vgpr_workitem_id 0
		.amdhsa_next_free_vgpr 4
		.amdhsa_next_free_sgpr 16
		.amdhsa_reserve_vcc 1
		.amdhsa_float_round_mode_32 0
		.amdhsa_float_round_mode_16_64 0
		.amdhsa_float_denorm_mode_32 3
		.amdhsa_float_denorm_mode_16_64 3
		.amdhsa_dx10_clamp 1
		.amdhsa_ieee_mode 1
		.amdhsa_fp16_overflow 0
		.amdhsa_workgroup_processor_mode 1
		.amdhsa_memory_ordered 1
		.amdhsa_forward_progress 0
		.amdhsa_shared_vgpr_count 0
		.amdhsa_exception_fp_ieee_invalid_op 0
		.amdhsa_exception_fp_denorm_src 0
		.amdhsa_exception_fp_ieee_div_zero 0
		.amdhsa_exception_fp_ieee_overflow 0
		.amdhsa_exception_fp_ieee_underflow 0
		.amdhsa_exception_fp_ieee_inexact 0
		.amdhsa_exception_int_div_zero 0
	.end_amdhsa_kernel
	.section	.text._Z6kernelI14inclusive_scandLj64ELj100EEvPKT0_PS1_S1_,"axG",@progbits,_Z6kernelI14inclusive_scandLj64ELj100EEvPKT0_PS1_S1_,comdat
.Lfunc_end12:
	.size	_Z6kernelI14inclusive_scandLj64ELj100EEvPKT0_PS1_S1_, .Lfunc_end12-_Z6kernelI14inclusive_scandLj64ELj100EEvPKT0_PS1_S1_
                                        ; -- End function
	.section	.AMDGPU.csdata,"",@progbits
; Kernel info:
; codeLenInByte = 116
; NumSgprs: 18
; NumVgprs: 4
; ScratchSize: 0
; MemoryBound: 0
; FloatMode: 240
; IeeeMode: 1
; LDSByteSize: 0 bytes/workgroup (compile time only)
; SGPRBlocks: 2
; VGPRBlocks: 0
; NumSGPRsForWavesPerEU: 18
; NumVGPRsForWavesPerEU: 4
; Occupancy: 16
; WaveLimiterHint : 0
; COMPUTE_PGM_RSRC2:SCRATCH_EN: 0
; COMPUTE_PGM_RSRC2:USER_SGPR: 15
; COMPUTE_PGM_RSRC2:TRAP_HANDLER: 0
; COMPUTE_PGM_RSRC2:TGID_X_EN: 1
; COMPUTE_PGM_RSRC2:TGID_Y_EN: 0
; COMPUTE_PGM_RSRC2:TGID_Z_EN: 0
; COMPUTE_PGM_RSRC2:TIDIG_COMP_CNT: 0
	.section	.text._Z6kernelI14inclusive_scandLj32ELj100EEvPKT0_PS1_S1_,"axG",@progbits,_Z6kernelI14inclusive_scandLj32ELj100EEvPKT0_PS1_S1_,comdat
	.protected	_Z6kernelI14inclusive_scandLj32ELj100EEvPKT0_PS1_S1_ ; -- Begin function _Z6kernelI14inclusive_scandLj32ELj100EEvPKT0_PS1_S1_
	.globl	_Z6kernelI14inclusive_scandLj32ELj100EEvPKT0_PS1_S1_
	.p2align	8
	.type	_Z6kernelI14inclusive_scandLj32ELj100EEvPKT0_PS1_S1_,@function
_Z6kernelI14inclusive_scandLj32ELj100EEvPKT0_PS1_S1_: ; @_Z6kernelI14inclusive_scandLj32ELj100EEvPKT0_PS1_S1_
; %bb.0:
	s_clause 0x1
	s_load_b32 s2, s[0:1], 0x24
	s_load_b128 s[4:7], s[0:1], 0x0
	v_mbcnt_lo_u32_b32 v4, -1, 0
	s_delay_alu instid0(VALU_DEP_1) | instskip(SKIP_1) | instid1(VALU_DEP_2)
	v_and_b32_e32 v5, 15, v4
	v_and_b32_e32 v4, 16, v4
	v_cmp_lt_u32_e64 s1, 3, v5
	s_delay_alu instid0(VALU_DEP_2)
	v_cmp_ne_u32_e64 s3, 0, v4
	s_waitcnt lgkmcnt(0)
	s_and_b32 s0, s2, 0xffff
	v_cmp_lt_u32_e64 s2, 7, v5
	v_mad_u64_u32 v[1:2], null, s15, s0, v[0:1]
	v_mov_b32_e32 v2, 0
	v_cmp_lt_u32_e64 s0, 1, v5
	s_delay_alu instid0(VALU_DEP_2) | instskip(NEXT) | instid1(VALU_DEP_1)
	v_lshlrev_b64 v[0:1], 3, v[1:2]
	v_add_co_u32 v2, vcc_lo, s4, v0
	s_delay_alu instid0(VALU_DEP_2)
	v_add_co_ci_u32_e32 v3, vcc_lo, s5, v1, vcc_lo
	v_cmp_ne_u32_e32 vcc_lo, 0, v5
	s_movk_i32 s4, 0x64
	global_load_b64 v[2:3], v[2:3], off
	s_branch .LBB13_2
.LBB13_1:                               ;   in Loop: Header=BB13_2 Depth=1
	s_or_b32 exec_lo, exec_lo, s5
	s_add_i32 s4, s4, -1
	s_delay_alu instid0(SALU_CYCLE_1)
	s_cmp_lg_u32 s4, 0
	s_cbranch_scc0 .LBB13_12
.LBB13_2:                               ; =>This Inner Loop Header: Depth=1
	s_waitcnt vmcnt(0) lgkmcnt(1)
	s_delay_alu instid0(VALU_DEP_1) | instskip(SKIP_1) | instid1(VALU_DEP_2)
	v_mov_b32_dpp v4, v2 row_shr:1 row_mask:0xf bank_mask:0xf
	s_waitcnt lgkmcnt(0)
	v_mov_b32_dpp v5, v3 row_shr:1 row_mask:0xf bank_mask:0xf
	s_and_saveexec_b32 s5, vcc_lo
; %bb.3:                                ;   in Loop: Header=BB13_2 Depth=1
	s_delay_alu instid0(VALU_DEP_1)
	v_add_f64 v[2:3], v[2:3], v[4:5]
; %bb.4:                                ;   in Loop: Header=BB13_2 Depth=1
	s_or_b32 exec_lo, exec_lo, s5
	s_delay_alu instid0(VALU_DEP_1) | instskip(NEXT) | instid1(VALU_DEP_2)
	v_mov_b32_dpp v4, v2 row_shr:2 row_mask:0xf bank_mask:0xf
	v_mov_b32_dpp v5, v3 row_shr:2 row_mask:0xf bank_mask:0xf
	s_and_saveexec_b32 s5, s0
; %bb.5:                                ;   in Loop: Header=BB13_2 Depth=1
	s_delay_alu instid0(VALU_DEP_1)
	v_add_f64 v[2:3], v[2:3], v[4:5]
; %bb.6:                                ;   in Loop: Header=BB13_2 Depth=1
	s_or_b32 exec_lo, exec_lo, s5
	s_delay_alu instid0(VALU_DEP_1) | instskip(NEXT) | instid1(VALU_DEP_2)
	v_mov_b32_dpp v4, v2 row_shr:4 row_mask:0xf bank_mask:0xf
	v_mov_b32_dpp v5, v3 row_shr:4 row_mask:0xf bank_mask:0xf
	s_and_saveexec_b32 s5, s1
	;; [unrolled: 9-line block ×3, first 2 shown]
; %bb.9:                                ;   in Loop: Header=BB13_2 Depth=1
	s_delay_alu instid0(VALU_DEP_1)
	v_add_f64 v[2:3], v[2:3], v[4:5]
; %bb.10:                               ;   in Loop: Header=BB13_2 Depth=1
	s_or_b32 exec_lo, exec_lo, s5
	ds_swizzle_b32 v4, v2 offset:swizzle(BROADCAST,32,15)
	ds_swizzle_b32 v5, v3 offset:swizzle(BROADCAST,32,15)
	s_and_saveexec_b32 s5, s3
	s_cbranch_execz .LBB13_1
; %bb.11:                               ;   in Loop: Header=BB13_2 Depth=1
	s_waitcnt lgkmcnt(0)
	v_add_f64 v[2:3], v[2:3], v[4:5]
	s_branch .LBB13_1
.LBB13_12:
	v_add_co_u32 v0, vcc_lo, s6, v0
	v_add_co_ci_u32_e32 v1, vcc_lo, s7, v1, vcc_lo
	global_store_b64 v[0:1], v[2:3], off
	s_nop 0
	s_sendmsg sendmsg(MSG_DEALLOC_VGPRS)
	s_endpgm
	.section	.rodata,"a",@progbits
	.p2align	6, 0x0
	.amdhsa_kernel _Z6kernelI14inclusive_scandLj32ELj100EEvPKT0_PS1_S1_
		.amdhsa_group_segment_fixed_size 0
		.amdhsa_private_segment_fixed_size 0
		.amdhsa_kernarg_size 280
		.amdhsa_user_sgpr_count 15
		.amdhsa_user_sgpr_dispatch_ptr 0
		.amdhsa_user_sgpr_queue_ptr 0
		.amdhsa_user_sgpr_kernarg_segment_ptr 1
		.amdhsa_user_sgpr_dispatch_id 0
		.amdhsa_user_sgpr_private_segment_size 0
		.amdhsa_wavefront_size32 1
		.amdhsa_uses_dynamic_stack 0
		.amdhsa_enable_private_segment 0
		.amdhsa_system_sgpr_workgroup_id_x 1
		.amdhsa_system_sgpr_workgroup_id_y 0
		.amdhsa_system_sgpr_workgroup_id_z 0
		.amdhsa_system_sgpr_workgroup_info 0
		.amdhsa_system_vgpr_workitem_id 0
		.amdhsa_next_free_vgpr 6
		.amdhsa_next_free_sgpr 16
		.amdhsa_reserve_vcc 1
		.amdhsa_float_round_mode_32 0
		.amdhsa_float_round_mode_16_64 0
		.amdhsa_float_denorm_mode_32 3
		.amdhsa_float_denorm_mode_16_64 3
		.amdhsa_dx10_clamp 1
		.amdhsa_ieee_mode 1
		.amdhsa_fp16_overflow 0
		.amdhsa_workgroup_processor_mode 1
		.amdhsa_memory_ordered 1
		.amdhsa_forward_progress 0
		.amdhsa_shared_vgpr_count 0
		.amdhsa_exception_fp_ieee_invalid_op 0
		.amdhsa_exception_fp_denorm_src 0
		.amdhsa_exception_fp_ieee_div_zero 0
		.amdhsa_exception_fp_ieee_overflow 0
		.amdhsa_exception_fp_ieee_underflow 0
		.amdhsa_exception_fp_ieee_inexact 0
		.amdhsa_exception_int_div_zero 0
	.end_amdhsa_kernel
	.section	.text._Z6kernelI14inclusive_scandLj32ELj100EEvPKT0_PS1_S1_,"axG",@progbits,_Z6kernelI14inclusive_scandLj32ELj100EEvPKT0_PS1_S1_,comdat
.Lfunc_end13:
	.size	_Z6kernelI14inclusive_scandLj32ELj100EEvPKT0_PS1_S1_, .Lfunc_end13-_Z6kernelI14inclusive_scandLj32ELj100EEvPKT0_PS1_S1_
                                        ; -- End function
	.section	.AMDGPU.csdata,"",@progbits
; Kernel info:
; codeLenInByte = 408
; NumSgprs: 18
; NumVgprs: 6
; ScratchSize: 0
; MemoryBound: 0
; FloatMode: 240
; IeeeMode: 1
; LDSByteSize: 0 bytes/workgroup (compile time only)
; SGPRBlocks: 2
; VGPRBlocks: 0
; NumSGPRsForWavesPerEU: 18
; NumVGPRsForWavesPerEU: 6
; Occupancy: 16
; WaveLimiterHint : 0
; COMPUTE_PGM_RSRC2:SCRATCH_EN: 0
; COMPUTE_PGM_RSRC2:USER_SGPR: 15
; COMPUTE_PGM_RSRC2:TRAP_HANDLER: 0
; COMPUTE_PGM_RSRC2:TGID_X_EN: 1
; COMPUTE_PGM_RSRC2:TGID_Y_EN: 0
; COMPUTE_PGM_RSRC2:TGID_Z_EN: 0
; COMPUTE_PGM_RSRC2:TIDIG_COMP_CNT: 0
	.section	.text._Z6kernelI14inclusive_scandLj16ELj100EEvPKT0_PS1_S1_,"axG",@progbits,_Z6kernelI14inclusive_scandLj16ELj100EEvPKT0_PS1_S1_,comdat
	.protected	_Z6kernelI14inclusive_scandLj16ELj100EEvPKT0_PS1_S1_ ; -- Begin function _Z6kernelI14inclusive_scandLj16ELj100EEvPKT0_PS1_S1_
	.globl	_Z6kernelI14inclusive_scandLj16ELj100EEvPKT0_PS1_S1_
	.p2align	8
	.type	_Z6kernelI14inclusive_scandLj16ELj100EEvPKT0_PS1_S1_,@function
_Z6kernelI14inclusive_scandLj16ELj100EEvPKT0_PS1_S1_: ; @_Z6kernelI14inclusive_scandLj16ELj100EEvPKT0_PS1_S1_
; %bb.0:
	s_clause 0x1
	s_load_b32 s2, s[0:1], 0x24
	s_load_b128 s[4:7], s[0:1], 0x0
	v_mbcnt_lo_u32_b32 v4, -1, 0
	s_movk_i32 s3, 0x64
	s_delay_alu instid0(VALU_DEP_1) | instskip(NEXT) | instid1(VALU_DEP_1)
	v_and_b32_e32 v4, 15, v4
	v_cmp_lt_u32_e64 s1, 3, v4
	s_waitcnt lgkmcnt(0)
	s_and_b32 s0, s2, 0xffff
	v_cmp_lt_u32_e64 s2, 7, v4
	v_mad_u64_u32 v[1:2], null, s15, s0, v[0:1]
	v_mov_b32_e32 v2, 0
	v_cmp_lt_u32_e64 s0, 1, v4
	s_delay_alu instid0(VALU_DEP_2) | instskip(NEXT) | instid1(VALU_DEP_1)
	v_lshlrev_b64 v[0:1], 3, v[1:2]
	v_add_co_u32 v2, vcc_lo, s4, v0
	s_delay_alu instid0(VALU_DEP_2)
	v_add_co_ci_u32_e32 v3, vcc_lo, s5, v1, vcc_lo
	v_cmp_ne_u32_e32 vcc_lo, 0, v4
	global_load_b64 v[2:3], v[2:3], off
	s_set_inst_prefetch_distance 0x1
	s_branch .LBB14_2
	.p2align	6
.LBB14_1:                               ;   in Loop: Header=BB14_2 Depth=1
	s_or_b32 exec_lo, exec_lo, s4
	s_add_i32 s3, s3, -1
	s_delay_alu instid0(SALU_CYCLE_1)
	s_cmp_lg_u32 s3, 0
	s_cbranch_scc0 .LBB14_10
.LBB14_2:                               ; =>This Inner Loop Header: Depth=1
	s_waitcnt vmcnt(0)
	s_delay_alu instid0(VALU_DEP_1) | instskip(NEXT) | instid1(VALU_DEP_2)
	v_mov_b32_dpp v4, v2 row_shr:1 row_mask:0xf bank_mask:0xf
	v_mov_b32_dpp v5, v3 row_shr:1 row_mask:0xf bank_mask:0xf
	s_and_saveexec_b32 s4, vcc_lo
; %bb.3:                                ;   in Loop: Header=BB14_2 Depth=1
	s_delay_alu instid0(VALU_DEP_1)
	v_add_f64 v[2:3], v[2:3], v[4:5]
; %bb.4:                                ;   in Loop: Header=BB14_2 Depth=1
	s_or_b32 exec_lo, exec_lo, s4
	s_delay_alu instid0(VALU_DEP_1) | instskip(NEXT) | instid1(VALU_DEP_2)
	v_mov_b32_dpp v4, v2 row_shr:2 row_mask:0xf bank_mask:0xf
	v_mov_b32_dpp v5, v3 row_shr:2 row_mask:0xf bank_mask:0xf
	s_and_saveexec_b32 s4, s0
; %bb.5:                                ;   in Loop: Header=BB14_2 Depth=1
	s_delay_alu instid0(VALU_DEP_1)
	v_add_f64 v[2:3], v[2:3], v[4:5]
; %bb.6:                                ;   in Loop: Header=BB14_2 Depth=1
	s_or_b32 exec_lo, exec_lo, s4
	s_delay_alu instid0(VALU_DEP_1) | instskip(NEXT) | instid1(VALU_DEP_2)
	v_mov_b32_dpp v4, v2 row_shr:4 row_mask:0xf bank_mask:0xf
	v_mov_b32_dpp v5, v3 row_shr:4 row_mask:0xf bank_mask:0xf
	s_and_saveexec_b32 s4, s1
	;; [unrolled: 9-line block ×3, first 2 shown]
	s_cbranch_execz .LBB14_1
; %bb.9:                                ;   in Loop: Header=BB14_2 Depth=1
	s_delay_alu instid0(VALU_DEP_1)
	v_add_f64 v[2:3], v[2:3], v[4:5]
	s_branch .LBB14_1
.LBB14_10:
	s_set_inst_prefetch_distance 0x2
	v_add_co_u32 v0, vcc_lo, s6, v0
	v_add_co_ci_u32_e32 v1, vcc_lo, s7, v1, vcc_lo
	global_store_b64 v[0:1], v[2:3], off
	s_nop 0
	s_sendmsg sendmsg(MSG_DEALLOC_VGPRS)
	s_endpgm
	.section	.rodata,"a",@progbits
	.p2align	6, 0x0
	.amdhsa_kernel _Z6kernelI14inclusive_scandLj16ELj100EEvPKT0_PS1_S1_
		.amdhsa_group_segment_fixed_size 0
		.amdhsa_private_segment_fixed_size 0
		.amdhsa_kernarg_size 280
		.amdhsa_user_sgpr_count 15
		.amdhsa_user_sgpr_dispatch_ptr 0
		.amdhsa_user_sgpr_queue_ptr 0
		.amdhsa_user_sgpr_kernarg_segment_ptr 1
		.amdhsa_user_sgpr_dispatch_id 0
		.amdhsa_user_sgpr_private_segment_size 0
		.amdhsa_wavefront_size32 1
		.amdhsa_uses_dynamic_stack 0
		.amdhsa_enable_private_segment 0
		.amdhsa_system_sgpr_workgroup_id_x 1
		.amdhsa_system_sgpr_workgroup_id_y 0
		.amdhsa_system_sgpr_workgroup_id_z 0
		.amdhsa_system_sgpr_workgroup_info 0
		.amdhsa_system_vgpr_workitem_id 0
		.amdhsa_next_free_vgpr 6
		.amdhsa_next_free_sgpr 16
		.amdhsa_reserve_vcc 1
		.amdhsa_float_round_mode_32 0
		.amdhsa_float_round_mode_16_64 0
		.amdhsa_float_denorm_mode_32 3
		.amdhsa_float_denorm_mode_16_64 3
		.amdhsa_dx10_clamp 1
		.amdhsa_ieee_mode 1
		.amdhsa_fp16_overflow 0
		.amdhsa_workgroup_processor_mode 1
		.amdhsa_memory_ordered 1
		.amdhsa_forward_progress 0
		.amdhsa_shared_vgpr_count 0
		.amdhsa_exception_fp_ieee_invalid_op 0
		.amdhsa_exception_fp_denorm_src 0
		.amdhsa_exception_fp_ieee_div_zero 0
		.amdhsa_exception_fp_ieee_overflow 0
		.amdhsa_exception_fp_ieee_underflow 0
		.amdhsa_exception_fp_ieee_inexact 0
		.amdhsa_exception_int_div_zero 0
	.end_amdhsa_kernel
	.section	.text._Z6kernelI14inclusive_scandLj16ELj100EEvPKT0_PS1_S1_,"axG",@progbits,_Z6kernelI14inclusive_scandLj16ELj100EEvPKT0_PS1_S1_,comdat
.Lfunc_end14:
	.size	_Z6kernelI14inclusive_scandLj16ELj100EEvPKT0_PS1_S1_, .Lfunc_end14-_Z6kernelI14inclusive_scandLj16ELj100EEvPKT0_PS1_S1_
                                        ; -- End function
	.section	.AMDGPU.csdata,"",@progbits
; Kernel info:
; codeLenInByte = 360
; NumSgprs: 18
; NumVgprs: 6
; ScratchSize: 0
; MemoryBound: 0
; FloatMode: 240
; IeeeMode: 1
; LDSByteSize: 0 bytes/workgroup (compile time only)
; SGPRBlocks: 2
; VGPRBlocks: 0
; NumSGPRsForWavesPerEU: 18
; NumVGPRsForWavesPerEU: 6
; Occupancy: 16
; WaveLimiterHint : 0
; COMPUTE_PGM_RSRC2:SCRATCH_EN: 0
; COMPUTE_PGM_RSRC2:USER_SGPR: 15
; COMPUTE_PGM_RSRC2:TRAP_HANDLER: 0
; COMPUTE_PGM_RSRC2:TGID_X_EN: 1
; COMPUTE_PGM_RSRC2:TGID_Y_EN: 0
; COMPUTE_PGM_RSRC2:TGID_Z_EN: 0
; COMPUTE_PGM_RSRC2:TIDIG_COMP_CNT: 0
	.section	.text._Z6kernelI14inclusive_scandLj63ELj100EEvPKT0_PS1_S1_,"axG",@progbits,_Z6kernelI14inclusive_scandLj63ELj100EEvPKT0_PS1_S1_,comdat
	.protected	_Z6kernelI14inclusive_scandLj63ELj100EEvPKT0_PS1_S1_ ; -- Begin function _Z6kernelI14inclusive_scandLj63ELj100EEvPKT0_PS1_S1_
	.globl	_Z6kernelI14inclusive_scandLj63ELj100EEvPKT0_PS1_S1_
	.p2align	8
	.type	_Z6kernelI14inclusive_scandLj63ELj100EEvPKT0_PS1_S1_,@function
_Z6kernelI14inclusive_scandLj63ELj100EEvPKT0_PS1_S1_: ; @_Z6kernelI14inclusive_scandLj63ELj100EEvPKT0_PS1_S1_
; %bb.0:
	s_clause 0x1
	s_load_b32 s4, s[0:1], 0x24
	s_load_b128 s[0:3], s[0:1], 0x0
	s_waitcnt lgkmcnt(0)
	s_and_b32 s4, s4, 0xffff
	s_delay_alu instid0(SALU_CYCLE_1) | instskip(SKIP_1) | instid1(VALU_DEP_1)
	v_mad_u64_u32 v[1:2], null, s15, s4, v[0:1]
	v_mov_b32_e32 v2, 0
	v_lshlrev_b64 v[0:1], 3, v[1:2]
	s_delay_alu instid0(VALU_DEP_1) | instskip(NEXT) | instid1(VALU_DEP_2)
	v_add_co_u32 v2, vcc_lo, s0, v0
	v_add_co_ci_u32_e32 v3, vcc_lo, s1, v1, vcc_lo
	v_add_co_u32 v0, vcc_lo, s2, v0
	v_add_co_ci_u32_e32 v1, vcc_lo, s3, v1, vcc_lo
	global_load_b64 v[2:3], v[2:3], off
	s_waitcnt vmcnt(0)
	global_store_b64 v[0:1], v[2:3], off
	s_nop 0
	s_sendmsg sendmsg(MSG_DEALLOC_VGPRS)
	s_endpgm
	.section	.rodata,"a",@progbits
	.p2align	6, 0x0
	.amdhsa_kernel _Z6kernelI14inclusive_scandLj63ELj100EEvPKT0_PS1_S1_
		.amdhsa_group_segment_fixed_size 0
		.amdhsa_private_segment_fixed_size 0
		.amdhsa_kernarg_size 280
		.amdhsa_user_sgpr_count 15
		.amdhsa_user_sgpr_dispatch_ptr 0
		.amdhsa_user_sgpr_queue_ptr 0
		.amdhsa_user_sgpr_kernarg_segment_ptr 1
		.amdhsa_user_sgpr_dispatch_id 0
		.amdhsa_user_sgpr_private_segment_size 0
		.amdhsa_wavefront_size32 1
		.amdhsa_uses_dynamic_stack 0
		.amdhsa_enable_private_segment 0
		.amdhsa_system_sgpr_workgroup_id_x 1
		.amdhsa_system_sgpr_workgroup_id_y 0
		.amdhsa_system_sgpr_workgroup_id_z 0
		.amdhsa_system_sgpr_workgroup_info 0
		.amdhsa_system_vgpr_workitem_id 0
		.amdhsa_next_free_vgpr 4
		.amdhsa_next_free_sgpr 16
		.amdhsa_reserve_vcc 1
		.amdhsa_float_round_mode_32 0
		.amdhsa_float_round_mode_16_64 0
		.amdhsa_float_denorm_mode_32 3
		.amdhsa_float_denorm_mode_16_64 3
		.amdhsa_dx10_clamp 1
		.amdhsa_ieee_mode 1
		.amdhsa_fp16_overflow 0
		.amdhsa_workgroup_processor_mode 1
		.amdhsa_memory_ordered 1
		.amdhsa_forward_progress 0
		.amdhsa_shared_vgpr_count 0
		.amdhsa_exception_fp_ieee_invalid_op 0
		.amdhsa_exception_fp_denorm_src 0
		.amdhsa_exception_fp_ieee_div_zero 0
		.amdhsa_exception_fp_ieee_overflow 0
		.amdhsa_exception_fp_ieee_underflow 0
		.amdhsa_exception_fp_ieee_inexact 0
		.amdhsa_exception_int_div_zero 0
	.end_amdhsa_kernel
	.section	.text._Z6kernelI14inclusive_scandLj63ELj100EEvPKT0_PS1_S1_,"axG",@progbits,_Z6kernelI14inclusive_scandLj63ELj100EEvPKT0_PS1_S1_,comdat
.Lfunc_end15:
	.size	_Z6kernelI14inclusive_scandLj63ELj100EEvPKT0_PS1_S1_, .Lfunc_end15-_Z6kernelI14inclusive_scandLj63ELj100EEvPKT0_PS1_S1_
                                        ; -- End function
	.section	.AMDGPU.csdata,"",@progbits
; Kernel info:
; codeLenInByte = 116
; NumSgprs: 18
; NumVgprs: 4
; ScratchSize: 0
; MemoryBound: 0
; FloatMode: 240
; IeeeMode: 1
; LDSByteSize: 0 bytes/workgroup (compile time only)
; SGPRBlocks: 2
; VGPRBlocks: 0
; NumSGPRsForWavesPerEU: 18
; NumVGPRsForWavesPerEU: 4
; Occupancy: 16
; WaveLimiterHint : 0
; COMPUTE_PGM_RSRC2:SCRATCH_EN: 0
; COMPUTE_PGM_RSRC2:USER_SGPR: 15
; COMPUTE_PGM_RSRC2:TRAP_HANDLER: 0
; COMPUTE_PGM_RSRC2:TGID_X_EN: 1
; COMPUTE_PGM_RSRC2:TGID_Y_EN: 0
; COMPUTE_PGM_RSRC2:TGID_Z_EN: 0
; COMPUTE_PGM_RSRC2:TIDIG_COMP_CNT: 0
	.section	.text._Z6kernelI14inclusive_scandLj31ELj100EEvPKT0_PS1_S1_,"axG",@progbits,_Z6kernelI14inclusive_scandLj31ELj100EEvPKT0_PS1_S1_,comdat
	.protected	_Z6kernelI14inclusive_scandLj31ELj100EEvPKT0_PS1_S1_ ; -- Begin function _Z6kernelI14inclusive_scandLj31ELj100EEvPKT0_PS1_S1_
	.globl	_Z6kernelI14inclusive_scandLj31ELj100EEvPKT0_PS1_S1_
	.p2align	8
	.type	_Z6kernelI14inclusive_scandLj31ELj100EEvPKT0_PS1_S1_,@function
_Z6kernelI14inclusive_scandLj31ELj100EEvPKT0_PS1_S1_: ; @_Z6kernelI14inclusive_scandLj31ELj100EEvPKT0_PS1_S1_
; %bb.0:
	s_clause 0x1
	s_load_b32 s2, s[0:1], 0x24
	s_load_b128 s[4:7], s[0:1], 0x0
	v_mbcnt_lo_u32_b32 v4, -1, 0
	s_delay_alu instid0(VALU_DEP_1) | instskip(NEXT) | instid1(VALU_DEP_1)
	v_mul_hi_u32 v5, 0x8421085, v4
	v_mul_u32_u24_e32 v5, 31, v5
	s_delay_alu instid0(VALU_DEP_1) | instskip(SKIP_2) | instid1(SALU_CYCLE_1)
	v_sub_nc_u32_e32 v5, v4, v5
	s_waitcnt lgkmcnt(0)
	s_and_b32 s0, s2, 0xffff
	v_mad_u64_u32 v[1:2], null, s15, s0, v[0:1]
	s_delay_alu instid0(VALU_DEP_2)
	v_lshlrev_b32_e32 v4, 3, v5
	v_mov_b32_e32 v2, 0
	v_cmp_lt_u32_e64 s0, 1, v5
	v_cmp_lt_u32_e64 s1, 3, v5
	;; [unrolled: 1-line block ×4, first 2 shown]
	v_lshlrev_b64 v[0:1], 3, v[1:2]
	v_add_nc_u32_e32 v6, -16, v4
	v_subrev_nc_u32_e32 v7, 32, v4
	v_subrev_nc_u32_e32 v8, 64, v4
	v_add_nc_u32_e32 v9, 0xffffff80, v4
	v_add_co_u32 v2, vcc_lo, s4, v0
	v_add_co_ci_u32_e32 v3, vcc_lo, s5, v1, vcc_lo
	v_cmp_ne_u32_e32 vcc_lo, 0, v5
	v_add_nc_u32_e32 v5, -8, v4
	s_movk_i32 s4, 0x64
	global_load_b64 v[2:3], v[2:3], off
	s_branch .LBB16_2
.LBB16_1:                               ;   in Loop: Header=BB16_2 Depth=1
	s_or_b32 exec_lo, exec_lo, s5
	s_add_i32 s4, s4, -1
	s_delay_alu instid0(SALU_CYCLE_1)
	s_cmp_lg_u32 s4, 0
	; wave barrier
	s_cbranch_scc0 .LBB16_22
.LBB16_2:                               ; =>This Inner Loop Header: Depth=1
	s_waitcnt vmcnt(0)
	ds_store_b64 v4, v[2:3]
	; wave barrier
	s_and_saveexec_b32 s5, vcc_lo
	s_cbranch_execz .LBB16_4
; %bb.3:                                ;   in Loop: Header=BB16_2 Depth=1
	ds_load_b64 v[10:11], v5
	s_waitcnt lgkmcnt(0)
	v_add_f64 v[2:3], v[2:3], v[10:11]
.LBB16_4:                               ;   in Loop: Header=BB16_2 Depth=1
	s_or_b32 exec_lo, exec_lo, s5
	; wave barrier
	s_and_saveexec_b32 s5, vcc_lo
	s_cbranch_execz .LBB16_6
; %bb.5:                                ;   in Loop: Header=BB16_2 Depth=1
	ds_store_b64 v4, v[2:3]
.LBB16_6:                               ;   in Loop: Header=BB16_2 Depth=1
	s_or_b32 exec_lo, exec_lo, s5
	; wave barrier
	s_and_saveexec_b32 s5, s0
	s_cbranch_execz .LBB16_8
; %bb.7:                                ;   in Loop: Header=BB16_2 Depth=1
	ds_load_b64 v[10:11], v6
	s_waitcnt lgkmcnt(0)
	v_add_f64 v[2:3], v[2:3], v[10:11]
.LBB16_8:                               ;   in Loop: Header=BB16_2 Depth=1
	s_or_b32 exec_lo, exec_lo, s5
	; wave barrier
	s_and_saveexec_b32 s5, s0
	s_cbranch_execz .LBB16_10
; %bb.9:                                ;   in Loop: Header=BB16_2 Depth=1
	ds_store_b64 v4, v[2:3]
.LBB16_10:                              ;   in Loop: Header=BB16_2 Depth=1
	s_or_b32 exec_lo, exec_lo, s5
	; wave barrier
	s_and_saveexec_b32 s5, s1
	s_cbranch_execz .LBB16_12
; %bb.11:                               ;   in Loop: Header=BB16_2 Depth=1
	ds_load_b64 v[10:11], v7
	s_waitcnt lgkmcnt(0)
	v_add_f64 v[2:3], v[2:3], v[10:11]
.LBB16_12:                              ;   in Loop: Header=BB16_2 Depth=1
	s_or_b32 exec_lo, exec_lo, s5
	; wave barrier
	s_and_saveexec_b32 s5, s1
	s_cbranch_execz .LBB16_14
; %bb.13:                               ;   in Loop: Header=BB16_2 Depth=1
	ds_store_b64 v4, v[2:3]
.LBB16_14:                              ;   in Loop: Header=BB16_2 Depth=1
	s_or_b32 exec_lo, exec_lo, s5
	; wave barrier
	s_and_saveexec_b32 s5, s2
	s_cbranch_execz .LBB16_16
; %bb.15:                               ;   in Loop: Header=BB16_2 Depth=1
	ds_load_b64 v[10:11], v8
	s_waitcnt lgkmcnt(0)
	v_add_f64 v[2:3], v[2:3], v[10:11]
.LBB16_16:                              ;   in Loop: Header=BB16_2 Depth=1
	s_or_b32 exec_lo, exec_lo, s5
	; wave barrier
	s_and_saveexec_b32 s5, s2
	s_cbranch_execz .LBB16_18
; %bb.17:                               ;   in Loop: Header=BB16_2 Depth=1
	ds_store_b64 v4, v[2:3]
.LBB16_18:                              ;   in Loop: Header=BB16_2 Depth=1
	s_or_b32 exec_lo, exec_lo, s5
	; wave barrier
	s_and_saveexec_b32 s5, s3
	s_cbranch_execz .LBB16_20
; %bb.19:                               ;   in Loop: Header=BB16_2 Depth=1
	ds_load_b64 v[10:11], v9
	s_waitcnt lgkmcnt(0)
	v_add_f64 v[2:3], v[2:3], v[10:11]
.LBB16_20:                              ;   in Loop: Header=BB16_2 Depth=1
	s_or_b32 exec_lo, exec_lo, s5
	; wave barrier
	s_and_saveexec_b32 s5, s3
	s_cbranch_execz .LBB16_1
; %bb.21:                               ;   in Loop: Header=BB16_2 Depth=1
	ds_store_b64 v4, v[2:3]
	s_branch .LBB16_1
.LBB16_22:
	v_add_co_u32 v0, vcc_lo, s6, v0
	v_add_co_ci_u32_e32 v1, vcc_lo, s7, v1, vcc_lo
	global_store_b64 v[0:1], v[2:3], off
	s_nop 0
	s_sendmsg sendmsg(MSG_DEALLOC_VGPRS)
	s_endpgm
	.section	.rodata,"a",@progbits
	.p2align	6, 0x0
	.amdhsa_kernel _Z6kernelI14inclusive_scandLj31ELj100EEvPKT0_PS1_S1_
		.amdhsa_group_segment_fixed_size 248
		.amdhsa_private_segment_fixed_size 0
		.amdhsa_kernarg_size 280
		.amdhsa_user_sgpr_count 15
		.amdhsa_user_sgpr_dispatch_ptr 0
		.amdhsa_user_sgpr_queue_ptr 0
		.amdhsa_user_sgpr_kernarg_segment_ptr 1
		.amdhsa_user_sgpr_dispatch_id 0
		.amdhsa_user_sgpr_private_segment_size 0
		.amdhsa_wavefront_size32 1
		.amdhsa_uses_dynamic_stack 0
		.amdhsa_enable_private_segment 0
		.amdhsa_system_sgpr_workgroup_id_x 1
		.amdhsa_system_sgpr_workgroup_id_y 0
		.amdhsa_system_sgpr_workgroup_id_z 0
		.amdhsa_system_sgpr_workgroup_info 0
		.amdhsa_system_vgpr_workitem_id 0
		.amdhsa_next_free_vgpr 12
		.amdhsa_next_free_sgpr 16
		.amdhsa_reserve_vcc 1
		.amdhsa_float_round_mode_32 0
		.amdhsa_float_round_mode_16_64 0
		.amdhsa_float_denorm_mode_32 3
		.amdhsa_float_denorm_mode_16_64 3
		.amdhsa_dx10_clamp 1
		.amdhsa_ieee_mode 1
		.amdhsa_fp16_overflow 0
		.amdhsa_workgroup_processor_mode 1
		.amdhsa_memory_ordered 1
		.amdhsa_forward_progress 0
		.amdhsa_shared_vgpr_count 0
		.amdhsa_exception_fp_ieee_invalid_op 0
		.amdhsa_exception_fp_denorm_src 0
		.amdhsa_exception_fp_ieee_div_zero 0
		.amdhsa_exception_fp_ieee_overflow 0
		.amdhsa_exception_fp_ieee_underflow 0
		.amdhsa_exception_fp_ieee_inexact 0
		.amdhsa_exception_int_div_zero 0
	.end_amdhsa_kernel
	.section	.text._Z6kernelI14inclusive_scandLj31ELj100EEvPKT0_PS1_S1_,"axG",@progbits,_Z6kernelI14inclusive_scandLj31ELj100EEvPKT0_PS1_S1_,comdat
.Lfunc_end16:
	.size	_Z6kernelI14inclusive_scandLj31ELj100EEvPKT0_PS1_S1_, .Lfunc_end16-_Z6kernelI14inclusive_scandLj31ELj100EEvPKT0_PS1_S1_
                                        ; -- End function
	.section	.AMDGPU.csdata,"",@progbits
; Kernel info:
; codeLenInByte = 508
; NumSgprs: 18
; NumVgprs: 12
; ScratchSize: 0
; MemoryBound: 0
; FloatMode: 240
; IeeeMode: 1
; LDSByteSize: 248 bytes/workgroup (compile time only)
; SGPRBlocks: 2
; VGPRBlocks: 1
; NumSGPRsForWavesPerEU: 18
; NumVGPRsForWavesPerEU: 12
; Occupancy: 16
; WaveLimiterHint : 0
; COMPUTE_PGM_RSRC2:SCRATCH_EN: 0
; COMPUTE_PGM_RSRC2:USER_SGPR: 15
; COMPUTE_PGM_RSRC2:TRAP_HANDLER: 0
; COMPUTE_PGM_RSRC2:TGID_X_EN: 1
; COMPUTE_PGM_RSRC2:TGID_Y_EN: 0
; COMPUTE_PGM_RSRC2:TGID_Z_EN: 0
; COMPUTE_PGM_RSRC2:TIDIG_COMP_CNT: 0
	.section	.text._Z6kernelI14inclusive_scandLj15ELj100EEvPKT0_PS1_S1_,"axG",@progbits,_Z6kernelI14inclusive_scandLj15ELj100EEvPKT0_PS1_S1_,comdat
	.protected	_Z6kernelI14inclusive_scandLj15ELj100EEvPKT0_PS1_S1_ ; -- Begin function _Z6kernelI14inclusive_scandLj15ELj100EEvPKT0_PS1_S1_
	.globl	_Z6kernelI14inclusive_scandLj15ELj100EEvPKT0_PS1_S1_
	.p2align	8
	.type	_Z6kernelI14inclusive_scandLj15ELj100EEvPKT0_PS1_S1_,@function
_Z6kernelI14inclusive_scandLj15ELj100EEvPKT0_PS1_S1_: ; @_Z6kernelI14inclusive_scandLj15ELj100EEvPKT0_PS1_S1_
; %bb.0:
	s_clause 0x1
	s_load_b32 s2, s[0:1], 0x24
	s_load_b128 s[4:7], s[0:1], 0x0
	v_mbcnt_lo_u32_b32 v4, -1, 0
	s_movk_i32 s3, 0x64
	s_delay_alu instid0(VALU_DEP_1) | instskip(NEXT) | instid1(VALU_DEP_1)
	v_mul_hi_u32 v5, 0x11111112, v4
	v_mul_u32_u24_e32 v5, 15, v5
	s_delay_alu instid0(VALU_DEP_1) | instskip(SKIP_2) | instid1(SALU_CYCLE_1)
	v_sub_nc_u32_e32 v5, v4, v5
	s_waitcnt lgkmcnt(0)
	s_and_b32 s0, s2, 0xffff
	v_mad_u64_u32 v[1:2], null, s15, s0, v[0:1]
	s_delay_alu instid0(VALU_DEP_2)
	v_lshlrev_b32_e32 v4, 3, v5
	v_mov_b32_e32 v2, 0
	v_cmp_lt_u32_e64 s0, 1, v5
	v_cmp_lt_u32_e64 s1, 3, v5
	;; [unrolled: 1-line block ×3, first 2 shown]
	v_add_nc_u32_e32 v6, -16, v4
	v_lshlrev_b64 v[0:1], 3, v[1:2]
	v_subrev_nc_u32_e32 v7, 32, v4
	v_subrev_nc_u32_e32 v8, 64, v4
	s_delay_alu instid0(VALU_DEP_3) | instskip(NEXT) | instid1(VALU_DEP_4)
	v_add_co_u32 v2, vcc_lo, s4, v0
	v_add_co_ci_u32_e32 v3, vcc_lo, s5, v1, vcc_lo
	v_cmp_ne_u32_e32 vcc_lo, 0, v5
	v_add_nc_u32_e32 v5, -8, v4
	global_load_b64 v[2:3], v[2:3], off
	s_branch .LBB17_2
.LBB17_1:                               ;   in Loop: Header=BB17_2 Depth=1
	s_or_b32 exec_lo, exec_lo, s4
	s_add_i32 s3, s3, -1
	s_delay_alu instid0(SALU_CYCLE_1)
	s_cmp_lg_u32 s3, 0
	; wave barrier
	s_cbranch_scc0 .LBB17_18
.LBB17_2:                               ; =>This Inner Loop Header: Depth=1
	s_waitcnt vmcnt(0)
	ds_store_b64 v4, v[2:3]
	; wave barrier
	s_and_saveexec_b32 s4, vcc_lo
	s_cbranch_execz .LBB17_4
; %bb.3:                                ;   in Loop: Header=BB17_2 Depth=1
	ds_load_b64 v[9:10], v5
	s_waitcnt lgkmcnt(0)
	v_add_f64 v[2:3], v[2:3], v[9:10]
.LBB17_4:                               ;   in Loop: Header=BB17_2 Depth=1
	s_or_b32 exec_lo, exec_lo, s4
	; wave barrier
	s_and_saveexec_b32 s4, vcc_lo
	s_cbranch_execz .LBB17_6
; %bb.5:                                ;   in Loop: Header=BB17_2 Depth=1
	ds_store_b64 v4, v[2:3]
.LBB17_6:                               ;   in Loop: Header=BB17_2 Depth=1
	s_or_b32 exec_lo, exec_lo, s4
	; wave barrier
	s_and_saveexec_b32 s4, s0
	s_cbranch_execz .LBB17_8
; %bb.7:                                ;   in Loop: Header=BB17_2 Depth=1
	ds_load_b64 v[9:10], v6
	s_waitcnt lgkmcnt(0)
	v_add_f64 v[2:3], v[2:3], v[9:10]
.LBB17_8:                               ;   in Loop: Header=BB17_2 Depth=1
	s_or_b32 exec_lo, exec_lo, s4
	; wave barrier
	s_and_saveexec_b32 s4, s0
	s_cbranch_execz .LBB17_10
; %bb.9:                                ;   in Loop: Header=BB17_2 Depth=1
	ds_store_b64 v4, v[2:3]
.LBB17_10:                              ;   in Loop: Header=BB17_2 Depth=1
	s_or_b32 exec_lo, exec_lo, s4
	; wave barrier
	s_and_saveexec_b32 s4, s1
	s_cbranch_execz .LBB17_12
; %bb.11:                               ;   in Loop: Header=BB17_2 Depth=1
	ds_load_b64 v[9:10], v7
	s_waitcnt lgkmcnt(0)
	v_add_f64 v[2:3], v[2:3], v[9:10]
.LBB17_12:                              ;   in Loop: Header=BB17_2 Depth=1
	s_or_b32 exec_lo, exec_lo, s4
	; wave barrier
	s_and_saveexec_b32 s4, s1
	s_cbranch_execz .LBB17_14
; %bb.13:                               ;   in Loop: Header=BB17_2 Depth=1
	ds_store_b64 v4, v[2:3]
.LBB17_14:                              ;   in Loop: Header=BB17_2 Depth=1
	s_or_b32 exec_lo, exec_lo, s4
	; wave barrier
	s_and_saveexec_b32 s4, s2
	s_cbranch_execz .LBB17_16
; %bb.15:                               ;   in Loop: Header=BB17_2 Depth=1
	ds_load_b64 v[9:10], v8
	s_waitcnt lgkmcnt(0)
	v_add_f64 v[2:3], v[2:3], v[9:10]
.LBB17_16:                              ;   in Loop: Header=BB17_2 Depth=1
	s_or_b32 exec_lo, exec_lo, s4
	; wave barrier
	s_and_saveexec_b32 s4, s2
	s_cbranch_execz .LBB17_1
; %bb.17:                               ;   in Loop: Header=BB17_2 Depth=1
	ds_store_b64 v4, v[2:3]
	s_branch .LBB17_1
.LBB17_18:
	v_add_co_u32 v0, vcc_lo, s6, v0
	v_add_co_ci_u32_e32 v1, vcc_lo, s7, v1, vcc_lo
	global_store_b64 v[0:1], v[2:3], off
	s_nop 0
	s_sendmsg sendmsg(MSG_DEALLOC_VGPRS)
	s_endpgm
	.section	.rodata,"a",@progbits
	.p2align	6, 0x0
	.amdhsa_kernel _Z6kernelI14inclusive_scandLj15ELj100EEvPKT0_PS1_S1_
		.amdhsa_group_segment_fixed_size 120
		.amdhsa_private_segment_fixed_size 0
		.amdhsa_kernarg_size 280
		.amdhsa_user_sgpr_count 15
		.amdhsa_user_sgpr_dispatch_ptr 0
		.amdhsa_user_sgpr_queue_ptr 0
		.amdhsa_user_sgpr_kernarg_segment_ptr 1
		.amdhsa_user_sgpr_dispatch_id 0
		.amdhsa_user_sgpr_private_segment_size 0
		.amdhsa_wavefront_size32 1
		.amdhsa_uses_dynamic_stack 0
		.amdhsa_enable_private_segment 0
		.amdhsa_system_sgpr_workgroup_id_x 1
		.amdhsa_system_sgpr_workgroup_id_y 0
		.amdhsa_system_sgpr_workgroup_id_z 0
		.amdhsa_system_sgpr_workgroup_info 0
		.amdhsa_system_vgpr_workitem_id 0
		.amdhsa_next_free_vgpr 11
		.amdhsa_next_free_sgpr 16
		.amdhsa_reserve_vcc 1
		.amdhsa_float_round_mode_32 0
		.amdhsa_float_round_mode_16_64 0
		.amdhsa_float_denorm_mode_32 3
		.amdhsa_float_denorm_mode_16_64 3
		.amdhsa_dx10_clamp 1
		.amdhsa_ieee_mode 1
		.amdhsa_fp16_overflow 0
		.amdhsa_workgroup_processor_mode 1
		.amdhsa_memory_ordered 1
		.amdhsa_forward_progress 0
		.amdhsa_shared_vgpr_count 0
		.amdhsa_exception_fp_ieee_invalid_op 0
		.amdhsa_exception_fp_denorm_src 0
		.amdhsa_exception_fp_ieee_div_zero 0
		.amdhsa_exception_fp_ieee_overflow 0
		.amdhsa_exception_fp_ieee_underflow 0
		.amdhsa_exception_fp_ieee_inexact 0
		.amdhsa_exception_int_div_zero 0
	.end_amdhsa_kernel
	.section	.text._Z6kernelI14inclusive_scandLj15ELj100EEvPKT0_PS1_S1_,"axG",@progbits,_Z6kernelI14inclusive_scandLj15ELj100EEvPKT0_PS1_S1_,comdat
.Lfunc_end17:
	.size	_Z6kernelI14inclusive_scandLj15ELj100EEvPKT0_PS1_S1_, .Lfunc_end17-_Z6kernelI14inclusive_scandLj15ELj100EEvPKT0_PS1_S1_
                                        ; -- End function
	.section	.AMDGPU.csdata,"",@progbits
; Kernel info:
; codeLenInByte = 444
; NumSgprs: 18
; NumVgprs: 11
; ScratchSize: 0
; MemoryBound: 0
; FloatMode: 240
; IeeeMode: 1
; LDSByteSize: 120 bytes/workgroup (compile time only)
; SGPRBlocks: 2
; VGPRBlocks: 1
; NumSGPRsForWavesPerEU: 18
; NumVGPRsForWavesPerEU: 11
; Occupancy: 16
; WaveLimiterHint : 0
; COMPUTE_PGM_RSRC2:SCRATCH_EN: 0
; COMPUTE_PGM_RSRC2:USER_SGPR: 15
; COMPUTE_PGM_RSRC2:TRAP_HANDLER: 0
; COMPUTE_PGM_RSRC2:TGID_X_EN: 1
; COMPUTE_PGM_RSRC2:TGID_Y_EN: 0
; COMPUTE_PGM_RSRC2:TGID_Z_EN: 0
; COMPUTE_PGM_RSRC2:TIDIG_COMP_CNT: 0
	.section	.text._Z6kernelI14inclusive_scanaLj64ELj100EEvPKT0_PS1_S1_,"axG",@progbits,_Z6kernelI14inclusive_scanaLj64ELj100EEvPKT0_PS1_S1_,comdat
	.protected	_Z6kernelI14inclusive_scanaLj64ELj100EEvPKT0_PS1_S1_ ; -- Begin function _Z6kernelI14inclusive_scanaLj64ELj100EEvPKT0_PS1_S1_
	.globl	_Z6kernelI14inclusive_scanaLj64ELj100EEvPKT0_PS1_S1_
	.p2align	8
	.type	_Z6kernelI14inclusive_scanaLj64ELj100EEvPKT0_PS1_S1_,@function
_Z6kernelI14inclusive_scanaLj64ELj100EEvPKT0_PS1_S1_: ; @_Z6kernelI14inclusive_scanaLj64ELj100EEvPKT0_PS1_S1_
; %bb.0:
	s_clause 0x1
	s_load_b32 s4, s[0:1], 0x24
	s_load_b128 s[0:3], s[0:1], 0x0
	s_waitcnt lgkmcnt(0)
	s_and_b32 s4, s4, 0xffff
	s_delay_alu instid0(SALU_CYCLE_1)
	v_mad_u64_u32 v[1:2], null, s15, s4, v[0:1]
	global_load_u8 v0, v1, s[0:1]
	s_waitcnt vmcnt(0)
	global_store_b8 v1, v0, s[2:3]
	s_nop 0
	s_sendmsg sendmsg(MSG_DEALLOC_VGPRS)
	s_endpgm
	.section	.rodata,"a",@progbits
	.p2align	6, 0x0
	.amdhsa_kernel _Z6kernelI14inclusive_scanaLj64ELj100EEvPKT0_PS1_S1_
		.amdhsa_group_segment_fixed_size 0
		.amdhsa_private_segment_fixed_size 0
		.amdhsa_kernarg_size 280
		.amdhsa_user_sgpr_count 15
		.amdhsa_user_sgpr_dispatch_ptr 0
		.amdhsa_user_sgpr_queue_ptr 0
		.amdhsa_user_sgpr_kernarg_segment_ptr 1
		.amdhsa_user_sgpr_dispatch_id 0
		.amdhsa_user_sgpr_private_segment_size 0
		.amdhsa_wavefront_size32 1
		.amdhsa_uses_dynamic_stack 0
		.amdhsa_enable_private_segment 0
		.amdhsa_system_sgpr_workgroup_id_x 1
		.amdhsa_system_sgpr_workgroup_id_y 0
		.amdhsa_system_sgpr_workgroup_id_z 0
		.amdhsa_system_sgpr_workgroup_info 0
		.amdhsa_system_vgpr_workitem_id 0
		.amdhsa_next_free_vgpr 3
		.amdhsa_next_free_sgpr 16
		.amdhsa_reserve_vcc 0
		.amdhsa_float_round_mode_32 0
		.amdhsa_float_round_mode_16_64 0
		.amdhsa_float_denorm_mode_32 3
		.amdhsa_float_denorm_mode_16_64 3
		.amdhsa_dx10_clamp 1
		.amdhsa_ieee_mode 1
		.amdhsa_fp16_overflow 0
		.amdhsa_workgroup_processor_mode 1
		.amdhsa_memory_ordered 1
		.amdhsa_forward_progress 0
		.amdhsa_shared_vgpr_count 0
		.amdhsa_exception_fp_ieee_invalid_op 0
		.amdhsa_exception_fp_denorm_src 0
		.amdhsa_exception_fp_ieee_div_zero 0
		.amdhsa_exception_fp_ieee_overflow 0
		.amdhsa_exception_fp_ieee_underflow 0
		.amdhsa_exception_fp_ieee_inexact 0
		.amdhsa_exception_int_div_zero 0
	.end_amdhsa_kernel
	.section	.text._Z6kernelI14inclusive_scanaLj64ELj100EEvPKT0_PS1_S1_,"axG",@progbits,_Z6kernelI14inclusive_scanaLj64ELj100EEvPKT0_PS1_S1_,comdat
.Lfunc_end18:
	.size	_Z6kernelI14inclusive_scanaLj64ELj100EEvPKT0_PS1_S1_, .Lfunc_end18-_Z6kernelI14inclusive_scanaLj64ELj100EEvPKT0_PS1_S1_
                                        ; -- End function
	.section	.AMDGPU.csdata,"",@progbits
; Kernel info:
; codeLenInByte = 76
; NumSgprs: 16
; NumVgprs: 3
; ScratchSize: 0
; MemoryBound: 0
; FloatMode: 240
; IeeeMode: 1
; LDSByteSize: 0 bytes/workgroup (compile time only)
; SGPRBlocks: 1
; VGPRBlocks: 0
; NumSGPRsForWavesPerEU: 16
; NumVGPRsForWavesPerEU: 3
; Occupancy: 16
; WaveLimiterHint : 0
; COMPUTE_PGM_RSRC2:SCRATCH_EN: 0
; COMPUTE_PGM_RSRC2:USER_SGPR: 15
; COMPUTE_PGM_RSRC2:TRAP_HANDLER: 0
; COMPUTE_PGM_RSRC2:TGID_X_EN: 1
; COMPUTE_PGM_RSRC2:TGID_Y_EN: 0
; COMPUTE_PGM_RSRC2:TGID_Z_EN: 0
; COMPUTE_PGM_RSRC2:TIDIG_COMP_CNT: 0
	.section	.text._Z6kernelI14inclusive_scanaLj32ELj100EEvPKT0_PS1_S1_,"axG",@progbits,_Z6kernelI14inclusive_scanaLj32ELj100EEvPKT0_PS1_S1_,comdat
	.protected	_Z6kernelI14inclusive_scanaLj32ELj100EEvPKT0_PS1_S1_ ; -- Begin function _Z6kernelI14inclusive_scanaLj32ELj100EEvPKT0_PS1_S1_
	.globl	_Z6kernelI14inclusive_scanaLj32ELj100EEvPKT0_PS1_S1_
	.p2align	8
	.type	_Z6kernelI14inclusive_scanaLj32ELj100EEvPKT0_PS1_S1_,@function
_Z6kernelI14inclusive_scanaLj32ELj100EEvPKT0_PS1_S1_: ; @_Z6kernelI14inclusive_scanaLj32ELj100EEvPKT0_PS1_S1_
; %bb.0:
	s_clause 0x1
	s_load_b32 s2, s[0:1], 0x24
	s_load_b128 s[4:7], s[0:1], 0x0
	s_waitcnt lgkmcnt(0)
	s_and_b32 s0, s2, 0xffff
	s_delay_alu instid0(SALU_CYCLE_1) | instskip(SKIP_1) | instid1(VALU_DEP_1)
	v_mad_u64_u32 v[1:2], null, s15, s0, v[0:1]
	v_mbcnt_lo_u32_b32 v2, -1, 0
	v_and_b32_e32 v3, 15, v2
	global_load_u8 v0, v1, s[4:5]
	v_and_b32_e32 v2, 16, v2
	s_movk_i32 s4, 0x64
	v_cmp_eq_u32_e32 vcc_lo, 0, v3
	v_cmp_lt_u32_e64 s0, 1, v3
	v_cmp_lt_u32_e64 s1, 3, v3
	;; [unrolled: 1-line block ×3, first 2 shown]
	v_cmp_eq_u32_e64 s3, 0, v2
	s_set_inst_prefetch_distance 0x1
	.p2align	6
.LBB19_1:                               ; =>This Inner Loop Header: Depth=1
	s_waitcnt vmcnt(0)
	s_delay_alu instid0(VALU_DEP_1) | instskip(SKIP_1) | instid1(SALU_CYCLE_1)
	v_and_b32_e32 v2, 0xff, v0
	s_add_i32 s4, s4, -1
	s_cmp_lg_u32 s4, 0
	s_delay_alu instid0(VALU_DEP_1) | instskip(NEXT) | instid1(VALU_DEP_1)
	v_mov_b32_dpp v2, v2 row_shr:1 row_mask:0xf bank_mask:0xf
	v_cndmask_b32_e64 v2, v2, 0, vcc_lo
	s_delay_alu instid0(VALU_DEP_1) | instskip(NEXT) | instid1(VALU_DEP_1)
	v_add_nc_u16 v0, v2, v0
	v_and_b32_e32 v2, 0xff, v0
	s_delay_alu instid0(VALU_DEP_1) | instskip(NEXT) | instid1(VALU_DEP_1)
	v_mov_b32_dpp v2, v2 row_shr:2 row_mask:0xf bank_mask:0xf
	v_cndmask_b32_e64 v2, 0, v2, s0
	s_delay_alu instid0(VALU_DEP_1) | instskip(NEXT) | instid1(VALU_DEP_1)
	v_add_nc_u16 v0, v0, v2
	v_and_b32_e32 v2, 0xff, v0
	s_delay_alu instid0(VALU_DEP_1) | instskip(NEXT) | instid1(VALU_DEP_1)
	v_mov_b32_dpp v2, v2 row_shr:4 row_mask:0xf bank_mask:0xf
	v_cndmask_b32_e64 v2, 0, v2, s1
	;; [unrolled: 6-line block ×3, first 2 shown]
	s_delay_alu instid0(VALU_DEP_1) | instskip(NEXT) | instid1(VALU_DEP_1)
	v_add_nc_u16 v0, v0, v2
	v_and_b32_e32 v2, 0xff, v0
	ds_swizzle_b32 v2, v2 offset:swizzle(BROADCAST,32,15)
	s_waitcnt lgkmcnt(0)
	v_cndmask_b32_e64 v2, v2, 0, s3
	s_delay_alu instid0(VALU_DEP_1)
	v_add_nc_u16 v0, v0, v2
	s_cbranch_scc1 .LBB19_1
; %bb.2:
	s_set_inst_prefetch_distance 0x2
	v_add_co_u32 v1, s0, s6, v1
	s_delay_alu instid0(VALU_DEP_1)
	v_add_co_ci_u32_e64 v2, null, s7, 0, s0
	global_store_b8 v[1:2], v0, off
	s_nop 0
	s_sendmsg sendmsg(MSG_DEALLOC_VGPRS)
	s_endpgm
	.section	.rodata,"a",@progbits
	.p2align	6, 0x0
	.amdhsa_kernel _Z6kernelI14inclusive_scanaLj32ELj100EEvPKT0_PS1_S1_
		.amdhsa_group_segment_fixed_size 0
		.amdhsa_private_segment_fixed_size 0
		.amdhsa_kernarg_size 280
		.amdhsa_user_sgpr_count 15
		.amdhsa_user_sgpr_dispatch_ptr 0
		.amdhsa_user_sgpr_queue_ptr 0
		.amdhsa_user_sgpr_kernarg_segment_ptr 1
		.amdhsa_user_sgpr_dispatch_id 0
		.amdhsa_user_sgpr_private_segment_size 0
		.amdhsa_wavefront_size32 1
		.amdhsa_uses_dynamic_stack 0
		.amdhsa_enable_private_segment 0
		.amdhsa_system_sgpr_workgroup_id_x 1
		.amdhsa_system_sgpr_workgroup_id_y 0
		.amdhsa_system_sgpr_workgroup_id_z 0
		.amdhsa_system_sgpr_workgroup_info 0
		.amdhsa_system_vgpr_workitem_id 0
		.amdhsa_next_free_vgpr 4
		.amdhsa_next_free_sgpr 16
		.amdhsa_reserve_vcc 1
		.amdhsa_float_round_mode_32 0
		.amdhsa_float_round_mode_16_64 0
		.amdhsa_float_denorm_mode_32 3
		.amdhsa_float_denorm_mode_16_64 3
		.amdhsa_dx10_clamp 1
		.amdhsa_ieee_mode 1
		.amdhsa_fp16_overflow 0
		.amdhsa_workgroup_processor_mode 1
		.amdhsa_memory_ordered 1
		.amdhsa_forward_progress 0
		.amdhsa_shared_vgpr_count 0
		.amdhsa_exception_fp_ieee_invalid_op 0
		.amdhsa_exception_fp_denorm_src 0
		.amdhsa_exception_fp_ieee_div_zero 0
		.amdhsa_exception_fp_ieee_overflow 0
		.amdhsa_exception_fp_ieee_underflow 0
		.amdhsa_exception_fp_ieee_inexact 0
		.amdhsa_exception_int_div_zero 0
	.end_amdhsa_kernel
	.section	.text._Z6kernelI14inclusive_scanaLj32ELj100EEvPKT0_PS1_S1_,"axG",@progbits,_Z6kernelI14inclusive_scanaLj32ELj100EEvPKT0_PS1_S1_,comdat
.Lfunc_end19:
	.size	_Z6kernelI14inclusive_scanaLj32ELj100EEvPKT0_PS1_S1_, .Lfunc_end19-_Z6kernelI14inclusive_scanaLj32ELj100EEvPKT0_PS1_S1_
                                        ; -- End function
	.section	.AMDGPU.csdata,"",@progbits
; Kernel info:
; codeLenInByte = 376
; NumSgprs: 18
; NumVgprs: 4
; ScratchSize: 0
; MemoryBound: 0
; FloatMode: 240
; IeeeMode: 1
; LDSByteSize: 0 bytes/workgroup (compile time only)
; SGPRBlocks: 2
; VGPRBlocks: 0
; NumSGPRsForWavesPerEU: 18
; NumVGPRsForWavesPerEU: 4
; Occupancy: 16
; WaveLimiterHint : 0
; COMPUTE_PGM_RSRC2:SCRATCH_EN: 0
; COMPUTE_PGM_RSRC2:USER_SGPR: 15
; COMPUTE_PGM_RSRC2:TRAP_HANDLER: 0
; COMPUTE_PGM_RSRC2:TGID_X_EN: 1
; COMPUTE_PGM_RSRC2:TGID_Y_EN: 0
; COMPUTE_PGM_RSRC2:TGID_Z_EN: 0
; COMPUTE_PGM_RSRC2:TIDIG_COMP_CNT: 0
	.section	.text._Z6kernelI14inclusive_scanaLj16ELj100EEvPKT0_PS1_S1_,"axG",@progbits,_Z6kernelI14inclusive_scanaLj16ELj100EEvPKT0_PS1_S1_,comdat
	.protected	_Z6kernelI14inclusive_scanaLj16ELj100EEvPKT0_PS1_S1_ ; -- Begin function _Z6kernelI14inclusive_scanaLj16ELj100EEvPKT0_PS1_S1_
	.globl	_Z6kernelI14inclusive_scanaLj16ELj100EEvPKT0_PS1_S1_
	.p2align	8
	.type	_Z6kernelI14inclusive_scanaLj16ELj100EEvPKT0_PS1_S1_,@function
_Z6kernelI14inclusive_scanaLj16ELj100EEvPKT0_PS1_S1_: ; @_Z6kernelI14inclusive_scanaLj16ELj100EEvPKT0_PS1_S1_
; %bb.0:
	s_clause 0x1
	s_load_b32 s2, s[0:1], 0x24
	s_load_b128 s[4:7], s[0:1], 0x0
	s_movk_i32 s3, 0x64
	s_waitcnt lgkmcnt(0)
	s_and_b32 s0, s2, 0xffff
	s_delay_alu instid0(SALU_CYCLE_1) | instskip(SKIP_1) | instid1(VALU_DEP_1)
	v_mad_u64_u32 v[1:2], null, s15, s0, v[0:1]
	v_mbcnt_lo_u32_b32 v2, -1, 0
	v_and_b32_e32 v2, 15, v2
	global_load_u8 v0, v1, s[4:5]
	v_cmp_eq_u32_e32 vcc_lo, 0, v2
	v_cmp_lt_u32_e64 s0, 1, v2
	v_cmp_lt_u32_e64 s1, 3, v2
	;; [unrolled: 1-line block ×3, first 2 shown]
	s_set_inst_prefetch_distance 0x1
	.p2align	6
.LBB20_1:                               ; =>This Inner Loop Header: Depth=1
	s_waitcnt vmcnt(0)
	s_delay_alu instid0(VALU_DEP_1) | instskip(SKIP_1) | instid1(SALU_CYCLE_1)
	v_and_b32_e32 v2, 0xff, v0
	s_add_i32 s3, s3, -1
	s_cmp_lg_u32 s3, 0
	s_delay_alu instid0(VALU_DEP_1) | instskip(NEXT) | instid1(VALU_DEP_1)
	v_mov_b32_dpp v2, v2 row_shr:1 row_mask:0xf bank_mask:0xf
	v_cndmask_b32_e64 v2, v2, 0, vcc_lo
	s_delay_alu instid0(VALU_DEP_1) | instskip(NEXT) | instid1(VALU_DEP_1)
	v_add_nc_u16 v0, v2, v0
	v_and_b32_e32 v2, 0xff, v0
	s_delay_alu instid0(VALU_DEP_1) | instskip(NEXT) | instid1(VALU_DEP_1)
	v_mov_b32_dpp v2, v2 row_shr:2 row_mask:0xf bank_mask:0xf
	v_cndmask_b32_e64 v2, 0, v2, s0
	s_delay_alu instid0(VALU_DEP_1) | instskip(NEXT) | instid1(VALU_DEP_1)
	v_add_nc_u16 v0, v0, v2
	v_and_b32_e32 v2, 0xff, v0
	s_delay_alu instid0(VALU_DEP_1) | instskip(NEXT) | instid1(VALU_DEP_1)
	v_mov_b32_dpp v2, v2 row_shr:4 row_mask:0xf bank_mask:0xf
	v_cndmask_b32_e64 v2, 0, v2, s1
	;; [unrolled: 6-line block ×3, first 2 shown]
	s_delay_alu instid0(VALU_DEP_1)
	v_add_nc_u16 v0, v0, v2
	s_cbranch_scc1 .LBB20_1
; %bb.2:
	s_set_inst_prefetch_distance 0x2
	v_add_co_u32 v1, s0, s6, v1
	s_delay_alu instid0(VALU_DEP_1)
	v_add_co_ci_u32_e64 v2, null, s7, 0, s0
	global_store_b8 v[1:2], v0, off
	s_nop 0
	s_sendmsg sendmsg(MSG_DEALLOC_VGPRS)
	s_endpgm
	.section	.rodata,"a",@progbits
	.p2align	6, 0x0
	.amdhsa_kernel _Z6kernelI14inclusive_scanaLj16ELj100EEvPKT0_PS1_S1_
		.amdhsa_group_segment_fixed_size 0
		.amdhsa_private_segment_fixed_size 0
		.amdhsa_kernarg_size 280
		.amdhsa_user_sgpr_count 15
		.amdhsa_user_sgpr_dispatch_ptr 0
		.amdhsa_user_sgpr_queue_ptr 0
		.amdhsa_user_sgpr_kernarg_segment_ptr 1
		.amdhsa_user_sgpr_dispatch_id 0
		.amdhsa_user_sgpr_private_segment_size 0
		.amdhsa_wavefront_size32 1
		.amdhsa_uses_dynamic_stack 0
		.amdhsa_enable_private_segment 0
		.amdhsa_system_sgpr_workgroup_id_x 1
		.amdhsa_system_sgpr_workgroup_id_y 0
		.amdhsa_system_sgpr_workgroup_id_z 0
		.amdhsa_system_sgpr_workgroup_info 0
		.amdhsa_system_vgpr_workitem_id 0
		.amdhsa_next_free_vgpr 3
		.amdhsa_next_free_sgpr 16
		.amdhsa_reserve_vcc 1
		.amdhsa_float_round_mode_32 0
		.amdhsa_float_round_mode_16_64 0
		.amdhsa_float_denorm_mode_32 3
		.amdhsa_float_denorm_mode_16_64 3
		.amdhsa_dx10_clamp 1
		.amdhsa_ieee_mode 1
		.amdhsa_fp16_overflow 0
		.amdhsa_workgroup_processor_mode 1
		.amdhsa_memory_ordered 1
		.amdhsa_forward_progress 0
		.amdhsa_shared_vgpr_count 0
		.amdhsa_exception_fp_ieee_invalid_op 0
		.amdhsa_exception_fp_denorm_src 0
		.amdhsa_exception_fp_ieee_div_zero 0
		.amdhsa_exception_fp_ieee_overflow 0
		.amdhsa_exception_fp_ieee_underflow 0
		.amdhsa_exception_fp_ieee_inexact 0
		.amdhsa_exception_int_div_zero 0
	.end_amdhsa_kernel
	.section	.text._Z6kernelI14inclusive_scanaLj16ELj100EEvPKT0_PS1_S1_,"axG",@progbits,_Z6kernelI14inclusive_scanaLj16ELj100EEvPKT0_PS1_S1_,comdat
.Lfunc_end20:
	.size	_Z6kernelI14inclusive_scanaLj16ELj100EEvPKT0_PS1_S1_, .Lfunc_end20-_Z6kernelI14inclusive_scanaLj16ELj100EEvPKT0_PS1_S1_
                                        ; -- End function
	.section	.AMDGPU.csdata,"",@progbits
; Kernel info:
; codeLenInByte = 324
; NumSgprs: 18
; NumVgprs: 3
; ScratchSize: 0
; MemoryBound: 0
; FloatMode: 240
; IeeeMode: 1
; LDSByteSize: 0 bytes/workgroup (compile time only)
; SGPRBlocks: 2
; VGPRBlocks: 0
; NumSGPRsForWavesPerEU: 18
; NumVGPRsForWavesPerEU: 3
; Occupancy: 16
; WaveLimiterHint : 0
; COMPUTE_PGM_RSRC2:SCRATCH_EN: 0
; COMPUTE_PGM_RSRC2:USER_SGPR: 15
; COMPUTE_PGM_RSRC2:TRAP_HANDLER: 0
; COMPUTE_PGM_RSRC2:TGID_X_EN: 1
; COMPUTE_PGM_RSRC2:TGID_Y_EN: 0
; COMPUTE_PGM_RSRC2:TGID_Z_EN: 0
; COMPUTE_PGM_RSRC2:TIDIG_COMP_CNT: 0
	.section	.text._Z6kernelI14inclusive_scanaLj63ELj100EEvPKT0_PS1_S1_,"axG",@progbits,_Z6kernelI14inclusive_scanaLj63ELj100EEvPKT0_PS1_S1_,comdat
	.protected	_Z6kernelI14inclusive_scanaLj63ELj100EEvPKT0_PS1_S1_ ; -- Begin function _Z6kernelI14inclusive_scanaLj63ELj100EEvPKT0_PS1_S1_
	.globl	_Z6kernelI14inclusive_scanaLj63ELj100EEvPKT0_PS1_S1_
	.p2align	8
	.type	_Z6kernelI14inclusive_scanaLj63ELj100EEvPKT0_PS1_S1_,@function
_Z6kernelI14inclusive_scanaLj63ELj100EEvPKT0_PS1_S1_: ; @_Z6kernelI14inclusive_scanaLj63ELj100EEvPKT0_PS1_S1_
; %bb.0:
	s_clause 0x1
	s_load_b32 s4, s[0:1], 0x24
	s_load_b128 s[0:3], s[0:1], 0x0
	s_waitcnt lgkmcnt(0)
	s_and_b32 s4, s4, 0xffff
	s_delay_alu instid0(SALU_CYCLE_1)
	v_mad_u64_u32 v[1:2], null, s15, s4, v[0:1]
	global_load_u8 v0, v1, s[0:1]
	s_waitcnt vmcnt(0)
	global_store_b8 v1, v0, s[2:3]
	s_nop 0
	s_sendmsg sendmsg(MSG_DEALLOC_VGPRS)
	s_endpgm
	.section	.rodata,"a",@progbits
	.p2align	6, 0x0
	.amdhsa_kernel _Z6kernelI14inclusive_scanaLj63ELj100EEvPKT0_PS1_S1_
		.amdhsa_group_segment_fixed_size 0
		.amdhsa_private_segment_fixed_size 0
		.amdhsa_kernarg_size 280
		.amdhsa_user_sgpr_count 15
		.amdhsa_user_sgpr_dispatch_ptr 0
		.amdhsa_user_sgpr_queue_ptr 0
		.amdhsa_user_sgpr_kernarg_segment_ptr 1
		.amdhsa_user_sgpr_dispatch_id 0
		.amdhsa_user_sgpr_private_segment_size 0
		.amdhsa_wavefront_size32 1
		.amdhsa_uses_dynamic_stack 0
		.amdhsa_enable_private_segment 0
		.amdhsa_system_sgpr_workgroup_id_x 1
		.amdhsa_system_sgpr_workgroup_id_y 0
		.amdhsa_system_sgpr_workgroup_id_z 0
		.amdhsa_system_sgpr_workgroup_info 0
		.amdhsa_system_vgpr_workitem_id 0
		.amdhsa_next_free_vgpr 3
		.amdhsa_next_free_sgpr 16
		.amdhsa_reserve_vcc 0
		.amdhsa_float_round_mode_32 0
		.amdhsa_float_round_mode_16_64 0
		.amdhsa_float_denorm_mode_32 3
		.amdhsa_float_denorm_mode_16_64 3
		.amdhsa_dx10_clamp 1
		.amdhsa_ieee_mode 1
		.amdhsa_fp16_overflow 0
		.amdhsa_workgroup_processor_mode 1
		.amdhsa_memory_ordered 1
		.amdhsa_forward_progress 0
		.amdhsa_shared_vgpr_count 0
		.amdhsa_exception_fp_ieee_invalid_op 0
		.amdhsa_exception_fp_denorm_src 0
		.amdhsa_exception_fp_ieee_div_zero 0
		.amdhsa_exception_fp_ieee_overflow 0
		.amdhsa_exception_fp_ieee_underflow 0
		.amdhsa_exception_fp_ieee_inexact 0
		.amdhsa_exception_int_div_zero 0
	.end_amdhsa_kernel
	.section	.text._Z6kernelI14inclusive_scanaLj63ELj100EEvPKT0_PS1_S1_,"axG",@progbits,_Z6kernelI14inclusive_scanaLj63ELj100EEvPKT0_PS1_S1_,comdat
.Lfunc_end21:
	.size	_Z6kernelI14inclusive_scanaLj63ELj100EEvPKT0_PS1_S1_, .Lfunc_end21-_Z6kernelI14inclusive_scanaLj63ELj100EEvPKT0_PS1_S1_
                                        ; -- End function
	.section	.AMDGPU.csdata,"",@progbits
; Kernel info:
; codeLenInByte = 76
; NumSgprs: 16
; NumVgprs: 3
; ScratchSize: 0
; MemoryBound: 0
; FloatMode: 240
; IeeeMode: 1
; LDSByteSize: 0 bytes/workgroup (compile time only)
; SGPRBlocks: 1
; VGPRBlocks: 0
; NumSGPRsForWavesPerEU: 16
; NumVGPRsForWavesPerEU: 3
; Occupancy: 16
; WaveLimiterHint : 0
; COMPUTE_PGM_RSRC2:SCRATCH_EN: 0
; COMPUTE_PGM_RSRC2:USER_SGPR: 15
; COMPUTE_PGM_RSRC2:TRAP_HANDLER: 0
; COMPUTE_PGM_RSRC2:TGID_X_EN: 1
; COMPUTE_PGM_RSRC2:TGID_Y_EN: 0
; COMPUTE_PGM_RSRC2:TGID_Z_EN: 0
; COMPUTE_PGM_RSRC2:TIDIG_COMP_CNT: 0
	.section	.text._Z6kernelI14inclusive_scanaLj31ELj100EEvPKT0_PS1_S1_,"axG",@progbits,_Z6kernelI14inclusive_scanaLj31ELj100EEvPKT0_PS1_S1_,comdat
	.protected	_Z6kernelI14inclusive_scanaLj31ELj100EEvPKT0_PS1_S1_ ; -- Begin function _Z6kernelI14inclusive_scanaLj31ELj100EEvPKT0_PS1_S1_
	.globl	_Z6kernelI14inclusive_scanaLj31ELj100EEvPKT0_PS1_S1_
	.p2align	8
	.type	_Z6kernelI14inclusive_scanaLj31ELj100EEvPKT0_PS1_S1_,@function
_Z6kernelI14inclusive_scanaLj31ELj100EEvPKT0_PS1_S1_: ; @_Z6kernelI14inclusive_scanaLj31ELj100EEvPKT0_PS1_S1_
; %bb.0:
	s_clause 0x1
	s_load_b32 s2, s[0:1], 0x24
	s_load_b128 s[4:7], s[0:1], 0x0
	s_waitcnt lgkmcnt(0)
	s_and_b32 s0, s2, 0xffff
	s_delay_alu instid0(SALU_CYCLE_1) | instskip(SKIP_1) | instid1(VALU_DEP_1)
	v_mad_u64_u32 v[1:2], null, s15, s0, v[0:1]
	v_mbcnt_lo_u32_b32 v2, -1, 0
	v_mul_hi_u32 v3, 0x8421085, v2
	global_load_u8 v0, v1, s[4:5]
	s_movk_i32 s4, 0x64
	v_mul_u32_u24_e32 v3, 31, v3
	s_delay_alu instid0(VALU_DEP_1) | instskip(NEXT) | instid1(VALU_DEP_1)
	v_sub_nc_u32_e32 v2, v2, v3
	v_cmp_ne_u32_e32 vcc_lo, 0, v2
	v_cmp_lt_u32_e64 s0, 1, v2
	v_cmp_lt_u32_e64 s1, 3, v2
	;; [unrolled: 1-line block ×4, first 2 shown]
	v_add_nc_u32_e32 v3, -1, v2
	v_add_nc_u32_e32 v4, -2, v2
	v_add_nc_u32_e32 v5, -4, v2
	v_add_nc_u32_e32 v6, -8, v2
	v_add_nc_u32_e32 v7, -16, v2
	s_branch .LBB22_2
.LBB22_1:                               ;   in Loop: Header=BB22_2 Depth=1
	s_or_b32 exec_lo, exec_lo, s5
	s_add_i32 s4, s4, -1
	s_delay_alu instid0(SALU_CYCLE_1)
	s_cmp_lg_u32 s4, 0
	; wave barrier
	s_cbranch_scc0 .LBB22_22
.LBB22_2:                               ; =>This Inner Loop Header: Depth=1
	s_waitcnt vmcnt(0)
	ds_store_b8 v2, v0
	; wave barrier
	s_and_saveexec_b32 s5, vcc_lo
	s_cbranch_execz .LBB22_4
; %bb.3:                                ;   in Loop: Header=BB22_2 Depth=1
	ds_load_u8 v8, v3
	s_waitcnt lgkmcnt(0)
	v_add_nc_u16 v0, v8, v0
.LBB22_4:                               ;   in Loop: Header=BB22_2 Depth=1
	s_or_b32 exec_lo, exec_lo, s5
	; wave barrier
	s_and_saveexec_b32 s5, vcc_lo
	s_cbranch_execz .LBB22_6
; %bb.5:                                ;   in Loop: Header=BB22_2 Depth=1
	ds_store_b8 v2, v0
.LBB22_6:                               ;   in Loop: Header=BB22_2 Depth=1
	s_or_b32 exec_lo, exec_lo, s5
	; wave barrier
	s_and_saveexec_b32 s5, s0
	s_cbranch_execz .LBB22_8
; %bb.7:                                ;   in Loop: Header=BB22_2 Depth=1
	ds_load_u8 v8, v4
	s_waitcnt lgkmcnt(0)
	v_add_nc_u16 v0, v8, v0
.LBB22_8:                               ;   in Loop: Header=BB22_2 Depth=1
	s_or_b32 exec_lo, exec_lo, s5
	; wave barrier
	s_and_saveexec_b32 s5, s0
	s_cbranch_execz .LBB22_10
; %bb.9:                                ;   in Loop: Header=BB22_2 Depth=1
	ds_store_b8 v2, v0
.LBB22_10:                              ;   in Loop: Header=BB22_2 Depth=1
	s_or_b32 exec_lo, exec_lo, s5
	; wave barrier
	s_and_saveexec_b32 s5, s1
	s_cbranch_execz .LBB22_12
; %bb.11:                               ;   in Loop: Header=BB22_2 Depth=1
	ds_load_u8 v8, v5
	s_waitcnt lgkmcnt(0)
	v_add_nc_u16 v0, v8, v0
.LBB22_12:                              ;   in Loop: Header=BB22_2 Depth=1
	s_or_b32 exec_lo, exec_lo, s5
	; wave barrier
	s_and_saveexec_b32 s5, s1
	s_cbranch_execz .LBB22_14
; %bb.13:                               ;   in Loop: Header=BB22_2 Depth=1
	ds_store_b8 v2, v0
.LBB22_14:                              ;   in Loop: Header=BB22_2 Depth=1
	s_or_b32 exec_lo, exec_lo, s5
	; wave barrier
	s_and_saveexec_b32 s5, s2
	s_cbranch_execz .LBB22_16
; %bb.15:                               ;   in Loop: Header=BB22_2 Depth=1
	ds_load_u8 v8, v6
	s_waitcnt lgkmcnt(0)
	v_add_nc_u16 v0, v8, v0
.LBB22_16:                              ;   in Loop: Header=BB22_2 Depth=1
	s_or_b32 exec_lo, exec_lo, s5
	; wave barrier
	s_and_saveexec_b32 s5, s2
	s_cbranch_execz .LBB22_18
; %bb.17:                               ;   in Loop: Header=BB22_2 Depth=1
	ds_store_b8 v2, v0
.LBB22_18:                              ;   in Loop: Header=BB22_2 Depth=1
	s_or_b32 exec_lo, exec_lo, s5
	; wave barrier
	s_and_saveexec_b32 s5, s3
	s_cbranch_execz .LBB22_20
; %bb.19:                               ;   in Loop: Header=BB22_2 Depth=1
	ds_load_u8 v8, v7
	s_waitcnt lgkmcnt(0)
	v_add_nc_u16 v0, v8, v0
.LBB22_20:                              ;   in Loop: Header=BB22_2 Depth=1
	s_or_b32 exec_lo, exec_lo, s5
	; wave barrier
	s_and_saveexec_b32 s5, s3
	s_cbranch_execz .LBB22_1
; %bb.21:                               ;   in Loop: Header=BB22_2 Depth=1
	ds_store_b8 v2, v0
	s_branch .LBB22_1
.LBB22_22:
	v_add_co_u32 v1, s0, s6, v1
	s_delay_alu instid0(VALU_DEP_1)
	v_add_co_ci_u32_e64 v2, null, s7, 0, s0
	global_store_b8 v[1:2], v0, off
	s_nop 0
	s_sendmsg sendmsg(MSG_DEALLOC_VGPRS)
	s_endpgm
	.section	.rodata,"a",@progbits
	.p2align	6, 0x0
	.amdhsa_kernel _Z6kernelI14inclusive_scanaLj31ELj100EEvPKT0_PS1_S1_
		.amdhsa_group_segment_fixed_size 31
		.amdhsa_private_segment_fixed_size 0
		.amdhsa_kernarg_size 280
		.amdhsa_user_sgpr_count 15
		.amdhsa_user_sgpr_dispatch_ptr 0
		.amdhsa_user_sgpr_queue_ptr 0
		.amdhsa_user_sgpr_kernarg_segment_ptr 1
		.amdhsa_user_sgpr_dispatch_id 0
		.amdhsa_user_sgpr_private_segment_size 0
		.amdhsa_wavefront_size32 1
		.amdhsa_uses_dynamic_stack 0
		.amdhsa_enable_private_segment 0
		.amdhsa_system_sgpr_workgroup_id_x 1
		.amdhsa_system_sgpr_workgroup_id_y 0
		.amdhsa_system_sgpr_workgroup_id_z 0
		.amdhsa_system_sgpr_workgroup_info 0
		.amdhsa_system_vgpr_workitem_id 0
		.amdhsa_next_free_vgpr 9
		.amdhsa_next_free_sgpr 16
		.amdhsa_reserve_vcc 1
		.amdhsa_float_round_mode_32 0
		.amdhsa_float_round_mode_16_64 0
		.amdhsa_float_denorm_mode_32 3
		.amdhsa_float_denorm_mode_16_64 3
		.amdhsa_dx10_clamp 1
		.amdhsa_ieee_mode 1
		.amdhsa_fp16_overflow 0
		.amdhsa_workgroup_processor_mode 1
		.amdhsa_memory_ordered 1
		.amdhsa_forward_progress 0
		.amdhsa_shared_vgpr_count 0
		.amdhsa_exception_fp_ieee_invalid_op 0
		.amdhsa_exception_fp_denorm_src 0
		.amdhsa_exception_fp_ieee_div_zero 0
		.amdhsa_exception_fp_ieee_overflow 0
		.amdhsa_exception_fp_ieee_underflow 0
		.amdhsa_exception_fp_ieee_inexact 0
		.amdhsa_exception_int_div_zero 0
	.end_amdhsa_kernel
	.section	.text._Z6kernelI14inclusive_scanaLj31ELj100EEvPKT0_PS1_S1_,"axG",@progbits,_Z6kernelI14inclusive_scanaLj31ELj100EEvPKT0_PS1_S1_,comdat
.Lfunc_end22:
	.size	_Z6kernelI14inclusive_scanaLj31ELj100EEvPKT0_PS1_S1_, .Lfunc_end22-_Z6kernelI14inclusive_scanaLj31ELj100EEvPKT0_PS1_S1_
                                        ; -- End function
	.section	.AMDGPU.csdata,"",@progbits
; Kernel info:
; codeLenInByte = 480
; NumSgprs: 18
; NumVgprs: 9
; ScratchSize: 0
; MemoryBound: 0
; FloatMode: 240
; IeeeMode: 1
; LDSByteSize: 31 bytes/workgroup (compile time only)
; SGPRBlocks: 2
; VGPRBlocks: 1
; NumSGPRsForWavesPerEU: 18
; NumVGPRsForWavesPerEU: 9
; Occupancy: 16
; WaveLimiterHint : 0
; COMPUTE_PGM_RSRC2:SCRATCH_EN: 0
; COMPUTE_PGM_RSRC2:USER_SGPR: 15
; COMPUTE_PGM_RSRC2:TRAP_HANDLER: 0
; COMPUTE_PGM_RSRC2:TGID_X_EN: 1
; COMPUTE_PGM_RSRC2:TGID_Y_EN: 0
; COMPUTE_PGM_RSRC2:TGID_Z_EN: 0
; COMPUTE_PGM_RSRC2:TIDIG_COMP_CNT: 0
	.section	.text._Z6kernelI14inclusive_scanaLj15ELj100EEvPKT0_PS1_S1_,"axG",@progbits,_Z6kernelI14inclusive_scanaLj15ELj100EEvPKT0_PS1_S1_,comdat
	.protected	_Z6kernelI14inclusive_scanaLj15ELj100EEvPKT0_PS1_S1_ ; -- Begin function _Z6kernelI14inclusive_scanaLj15ELj100EEvPKT0_PS1_S1_
	.globl	_Z6kernelI14inclusive_scanaLj15ELj100EEvPKT0_PS1_S1_
	.p2align	8
	.type	_Z6kernelI14inclusive_scanaLj15ELj100EEvPKT0_PS1_S1_,@function
_Z6kernelI14inclusive_scanaLj15ELj100EEvPKT0_PS1_S1_: ; @_Z6kernelI14inclusive_scanaLj15ELj100EEvPKT0_PS1_S1_
; %bb.0:
	s_clause 0x1
	s_load_b32 s2, s[0:1], 0x24
	s_load_b128 s[4:7], s[0:1], 0x0
	s_movk_i32 s3, 0x64
	s_waitcnt lgkmcnt(0)
	s_and_b32 s0, s2, 0xffff
	s_delay_alu instid0(SALU_CYCLE_1) | instskip(SKIP_1) | instid1(VALU_DEP_1)
	v_mad_u64_u32 v[1:2], null, s15, s0, v[0:1]
	v_mbcnt_lo_u32_b32 v2, -1, 0
	v_mul_hi_u32 v3, 0x11111112, v2
	global_load_u8 v0, v1, s[4:5]
	v_mul_u32_u24_e32 v3, 15, v3
	s_delay_alu instid0(VALU_DEP_1) | instskip(NEXT) | instid1(VALU_DEP_1)
	v_sub_nc_u32_e32 v2, v2, v3
	v_cmp_ne_u32_e32 vcc_lo, 0, v2
	v_cmp_lt_u32_e64 s0, 1, v2
	v_cmp_lt_u32_e64 s1, 3, v2
	;; [unrolled: 1-line block ×3, first 2 shown]
	v_add_nc_u32_e32 v3, -1, v2
	v_add_nc_u32_e32 v4, -2, v2
	;; [unrolled: 1-line block ×4, first 2 shown]
	s_branch .LBB23_2
.LBB23_1:                               ;   in Loop: Header=BB23_2 Depth=1
	s_or_b32 exec_lo, exec_lo, s4
	s_add_i32 s3, s3, -1
	s_delay_alu instid0(SALU_CYCLE_1)
	s_cmp_lg_u32 s3, 0
	; wave barrier
	s_cbranch_scc0 .LBB23_18
.LBB23_2:                               ; =>This Inner Loop Header: Depth=1
	s_waitcnt vmcnt(0)
	ds_store_b8 v2, v0
	; wave barrier
	s_and_saveexec_b32 s4, vcc_lo
	s_cbranch_execz .LBB23_4
; %bb.3:                                ;   in Loop: Header=BB23_2 Depth=1
	ds_load_u8 v7, v3
	s_waitcnt lgkmcnt(0)
	v_add_nc_u16 v0, v7, v0
.LBB23_4:                               ;   in Loop: Header=BB23_2 Depth=1
	s_or_b32 exec_lo, exec_lo, s4
	; wave barrier
	s_and_saveexec_b32 s4, vcc_lo
	s_cbranch_execz .LBB23_6
; %bb.5:                                ;   in Loop: Header=BB23_2 Depth=1
	ds_store_b8 v2, v0
.LBB23_6:                               ;   in Loop: Header=BB23_2 Depth=1
	s_or_b32 exec_lo, exec_lo, s4
	; wave barrier
	s_and_saveexec_b32 s4, s0
	s_cbranch_execz .LBB23_8
; %bb.7:                                ;   in Loop: Header=BB23_2 Depth=1
	ds_load_u8 v7, v4
	s_waitcnt lgkmcnt(0)
	v_add_nc_u16 v0, v7, v0
.LBB23_8:                               ;   in Loop: Header=BB23_2 Depth=1
	s_or_b32 exec_lo, exec_lo, s4
	; wave barrier
	s_and_saveexec_b32 s4, s0
	s_cbranch_execz .LBB23_10
; %bb.9:                                ;   in Loop: Header=BB23_2 Depth=1
	ds_store_b8 v2, v0
.LBB23_10:                              ;   in Loop: Header=BB23_2 Depth=1
	s_or_b32 exec_lo, exec_lo, s4
	; wave barrier
	s_and_saveexec_b32 s4, s1
	s_cbranch_execz .LBB23_12
; %bb.11:                               ;   in Loop: Header=BB23_2 Depth=1
	ds_load_u8 v7, v5
	s_waitcnt lgkmcnt(0)
	v_add_nc_u16 v0, v7, v0
.LBB23_12:                              ;   in Loop: Header=BB23_2 Depth=1
	s_or_b32 exec_lo, exec_lo, s4
	; wave barrier
	s_and_saveexec_b32 s4, s1
	s_cbranch_execz .LBB23_14
; %bb.13:                               ;   in Loop: Header=BB23_2 Depth=1
	ds_store_b8 v2, v0
.LBB23_14:                              ;   in Loop: Header=BB23_2 Depth=1
	s_or_b32 exec_lo, exec_lo, s4
	; wave barrier
	s_and_saveexec_b32 s4, s2
	s_cbranch_execz .LBB23_16
; %bb.15:                               ;   in Loop: Header=BB23_2 Depth=1
	ds_load_u8 v7, v6
	s_waitcnt lgkmcnt(0)
	v_add_nc_u16 v0, v7, v0
.LBB23_16:                              ;   in Loop: Header=BB23_2 Depth=1
	s_or_b32 exec_lo, exec_lo, s4
	; wave barrier
	s_and_saveexec_b32 s4, s2
	s_cbranch_execz .LBB23_1
; %bb.17:                               ;   in Loop: Header=BB23_2 Depth=1
	ds_store_b8 v2, v0
	s_branch .LBB23_1
.LBB23_18:
	v_add_co_u32 v1, s0, s6, v1
	s_delay_alu instid0(VALU_DEP_1)
	v_add_co_ci_u32_e64 v2, null, s7, 0, s0
	global_store_b8 v[1:2], v0, off
	s_nop 0
	s_sendmsg sendmsg(MSG_DEALLOC_VGPRS)
	s_endpgm
	.section	.rodata,"a",@progbits
	.p2align	6, 0x0
	.amdhsa_kernel _Z6kernelI14inclusive_scanaLj15ELj100EEvPKT0_PS1_S1_
		.amdhsa_group_segment_fixed_size 15
		.amdhsa_private_segment_fixed_size 0
		.amdhsa_kernarg_size 280
		.amdhsa_user_sgpr_count 15
		.amdhsa_user_sgpr_dispatch_ptr 0
		.amdhsa_user_sgpr_queue_ptr 0
		.amdhsa_user_sgpr_kernarg_segment_ptr 1
		.amdhsa_user_sgpr_dispatch_id 0
		.amdhsa_user_sgpr_private_segment_size 0
		.amdhsa_wavefront_size32 1
		.amdhsa_uses_dynamic_stack 0
		.amdhsa_enable_private_segment 0
		.amdhsa_system_sgpr_workgroup_id_x 1
		.amdhsa_system_sgpr_workgroup_id_y 0
		.amdhsa_system_sgpr_workgroup_id_z 0
		.amdhsa_system_sgpr_workgroup_info 0
		.amdhsa_system_vgpr_workitem_id 0
		.amdhsa_next_free_vgpr 8
		.amdhsa_next_free_sgpr 16
		.amdhsa_reserve_vcc 1
		.amdhsa_float_round_mode_32 0
		.amdhsa_float_round_mode_16_64 0
		.amdhsa_float_denorm_mode_32 3
		.amdhsa_float_denorm_mode_16_64 3
		.amdhsa_dx10_clamp 1
		.amdhsa_ieee_mode 1
		.amdhsa_fp16_overflow 0
		.amdhsa_workgroup_processor_mode 1
		.amdhsa_memory_ordered 1
		.amdhsa_forward_progress 0
		.amdhsa_shared_vgpr_count 0
		.amdhsa_exception_fp_ieee_invalid_op 0
		.amdhsa_exception_fp_denorm_src 0
		.amdhsa_exception_fp_ieee_div_zero 0
		.amdhsa_exception_fp_ieee_overflow 0
		.amdhsa_exception_fp_ieee_underflow 0
		.amdhsa_exception_fp_ieee_inexact 0
		.amdhsa_exception_int_div_zero 0
	.end_amdhsa_kernel
	.section	.text._Z6kernelI14inclusive_scanaLj15ELj100EEvPKT0_PS1_S1_,"axG",@progbits,_Z6kernelI14inclusive_scanaLj15ELj100EEvPKT0_PS1_S1_,comdat
.Lfunc_end23:
	.size	_Z6kernelI14inclusive_scanaLj15ELj100EEvPKT0_PS1_S1_, .Lfunc_end23-_Z6kernelI14inclusive_scanaLj15ELj100EEvPKT0_PS1_S1_
                                        ; -- End function
	.section	.AMDGPU.csdata,"",@progbits
; Kernel info:
; codeLenInByte = 416
; NumSgprs: 18
; NumVgprs: 8
; ScratchSize: 0
; MemoryBound: 0
; FloatMode: 240
; IeeeMode: 1
; LDSByteSize: 15 bytes/workgroup (compile time only)
; SGPRBlocks: 2
; VGPRBlocks: 0
; NumSGPRsForWavesPerEU: 18
; NumVGPRsForWavesPerEU: 8
; Occupancy: 16
; WaveLimiterHint : 0
; COMPUTE_PGM_RSRC2:SCRATCH_EN: 0
; COMPUTE_PGM_RSRC2:USER_SGPR: 15
; COMPUTE_PGM_RSRC2:TRAP_HANDLER: 0
; COMPUTE_PGM_RSRC2:TGID_X_EN: 1
; COMPUTE_PGM_RSRC2:TGID_Y_EN: 0
; COMPUTE_PGM_RSRC2:TGID_Z_EN: 0
; COMPUTE_PGM_RSRC2:TIDIG_COMP_CNT: 0
	.section	.text._Z6kernelI14inclusive_scanhLj64ELj100EEvPKT0_PS1_S1_,"axG",@progbits,_Z6kernelI14inclusive_scanhLj64ELj100EEvPKT0_PS1_S1_,comdat
	.protected	_Z6kernelI14inclusive_scanhLj64ELj100EEvPKT0_PS1_S1_ ; -- Begin function _Z6kernelI14inclusive_scanhLj64ELj100EEvPKT0_PS1_S1_
	.globl	_Z6kernelI14inclusive_scanhLj64ELj100EEvPKT0_PS1_S1_
	.p2align	8
	.type	_Z6kernelI14inclusive_scanhLj64ELj100EEvPKT0_PS1_S1_,@function
_Z6kernelI14inclusive_scanhLj64ELj100EEvPKT0_PS1_S1_: ; @_Z6kernelI14inclusive_scanhLj64ELj100EEvPKT0_PS1_S1_
; %bb.0:
	s_clause 0x1
	s_load_b32 s4, s[0:1], 0x24
	s_load_b128 s[0:3], s[0:1], 0x0
	s_waitcnt lgkmcnt(0)
	s_and_b32 s4, s4, 0xffff
	s_delay_alu instid0(SALU_CYCLE_1)
	v_mad_u64_u32 v[1:2], null, s15, s4, v[0:1]
	global_load_u8 v0, v1, s[0:1]
	s_waitcnt vmcnt(0)
	global_store_b8 v1, v0, s[2:3]
	s_nop 0
	s_sendmsg sendmsg(MSG_DEALLOC_VGPRS)
	s_endpgm
	.section	.rodata,"a",@progbits
	.p2align	6, 0x0
	.amdhsa_kernel _Z6kernelI14inclusive_scanhLj64ELj100EEvPKT0_PS1_S1_
		.amdhsa_group_segment_fixed_size 0
		.amdhsa_private_segment_fixed_size 0
		.amdhsa_kernarg_size 280
		.amdhsa_user_sgpr_count 15
		.amdhsa_user_sgpr_dispatch_ptr 0
		.amdhsa_user_sgpr_queue_ptr 0
		.amdhsa_user_sgpr_kernarg_segment_ptr 1
		.amdhsa_user_sgpr_dispatch_id 0
		.amdhsa_user_sgpr_private_segment_size 0
		.amdhsa_wavefront_size32 1
		.amdhsa_uses_dynamic_stack 0
		.amdhsa_enable_private_segment 0
		.amdhsa_system_sgpr_workgroup_id_x 1
		.amdhsa_system_sgpr_workgroup_id_y 0
		.amdhsa_system_sgpr_workgroup_id_z 0
		.amdhsa_system_sgpr_workgroup_info 0
		.amdhsa_system_vgpr_workitem_id 0
		.amdhsa_next_free_vgpr 3
		.amdhsa_next_free_sgpr 16
		.amdhsa_reserve_vcc 0
		.amdhsa_float_round_mode_32 0
		.amdhsa_float_round_mode_16_64 0
		.amdhsa_float_denorm_mode_32 3
		.amdhsa_float_denorm_mode_16_64 3
		.amdhsa_dx10_clamp 1
		.amdhsa_ieee_mode 1
		.amdhsa_fp16_overflow 0
		.amdhsa_workgroup_processor_mode 1
		.amdhsa_memory_ordered 1
		.amdhsa_forward_progress 0
		.amdhsa_shared_vgpr_count 0
		.amdhsa_exception_fp_ieee_invalid_op 0
		.amdhsa_exception_fp_denorm_src 0
		.amdhsa_exception_fp_ieee_div_zero 0
		.amdhsa_exception_fp_ieee_overflow 0
		.amdhsa_exception_fp_ieee_underflow 0
		.amdhsa_exception_fp_ieee_inexact 0
		.amdhsa_exception_int_div_zero 0
	.end_amdhsa_kernel
	.section	.text._Z6kernelI14inclusive_scanhLj64ELj100EEvPKT0_PS1_S1_,"axG",@progbits,_Z6kernelI14inclusive_scanhLj64ELj100EEvPKT0_PS1_S1_,comdat
.Lfunc_end24:
	.size	_Z6kernelI14inclusive_scanhLj64ELj100EEvPKT0_PS1_S1_, .Lfunc_end24-_Z6kernelI14inclusive_scanhLj64ELj100EEvPKT0_PS1_S1_
                                        ; -- End function
	.section	.AMDGPU.csdata,"",@progbits
; Kernel info:
; codeLenInByte = 76
; NumSgprs: 16
; NumVgprs: 3
; ScratchSize: 0
; MemoryBound: 0
; FloatMode: 240
; IeeeMode: 1
; LDSByteSize: 0 bytes/workgroup (compile time only)
; SGPRBlocks: 1
; VGPRBlocks: 0
; NumSGPRsForWavesPerEU: 16
; NumVGPRsForWavesPerEU: 3
; Occupancy: 16
; WaveLimiterHint : 0
; COMPUTE_PGM_RSRC2:SCRATCH_EN: 0
; COMPUTE_PGM_RSRC2:USER_SGPR: 15
; COMPUTE_PGM_RSRC2:TRAP_HANDLER: 0
; COMPUTE_PGM_RSRC2:TGID_X_EN: 1
; COMPUTE_PGM_RSRC2:TGID_Y_EN: 0
; COMPUTE_PGM_RSRC2:TGID_Z_EN: 0
; COMPUTE_PGM_RSRC2:TIDIG_COMP_CNT: 0
	.section	.text._Z6kernelI14inclusive_scanhLj32ELj100EEvPKT0_PS1_S1_,"axG",@progbits,_Z6kernelI14inclusive_scanhLj32ELj100EEvPKT0_PS1_S1_,comdat
	.protected	_Z6kernelI14inclusive_scanhLj32ELj100EEvPKT0_PS1_S1_ ; -- Begin function _Z6kernelI14inclusive_scanhLj32ELj100EEvPKT0_PS1_S1_
	.globl	_Z6kernelI14inclusive_scanhLj32ELj100EEvPKT0_PS1_S1_
	.p2align	8
	.type	_Z6kernelI14inclusive_scanhLj32ELj100EEvPKT0_PS1_S1_,@function
_Z6kernelI14inclusive_scanhLj32ELj100EEvPKT0_PS1_S1_: ; @_Z6kernelI14inclusive_scanhLj32ELj100EEvPKT0_PS1_S1_
; %bb.0:
	s_clause 0x1
	s_load_b32 s2, s[0:1], 0x24
	s_load_b128 s[4:7], s[0:1], 0x0
	s_waitcnt lgkmcnt(0)
	s_and_b32 s0, s2, 0xffff
	s_delay_alu instid0(SALU_CYCLE_1) | instskip(SKIP_1) | instid1(VALU_DEP_1)
	v_mad_u64_u32 v[1:2], null, s15, s0, v[0:1]
	v_mbcnt_lo_u32_b32 v2, -1, 0
	v_and_b32_e32 v3, 15, v2
	global_load_u8 v0, v1, s[4:5]
	v_and_b32_e32 v2, 16, v2
	s_movk_i32 s4, 0x64
	v_cmp_eq_u32_e32 vcc_lo, 0, v3
	v_cmp_lt_u32_e64 s0, 1, v3
	v_cmp_lt_u32_e64 s1, 3, v3
	;; [unrolled: 1-line block ×3, first 2 shown]
	v_cmp_eq_u32_e64 s3, 0, v2
	s_set_inst_prefetch_distance 0x1
	.p2align	6
.LBB25_1:                               ; =>This Inner Loop Header: Depth=1
	s_waitcnt vmcnt(0)
	s_delay_alu instid0(VALU_DEP_1) | instskip(SKIP_1) | instid1(SALU_CYCLE_1)
	v_and_b32_e32 v2, 0xff, v0
	s_add_i32 s4, s4, -1
	s_cmp_lg_u32 s4, 0
	s_delay_alu instid0(VALU_DEP_1) | instskip(NEXT) | instid1(VALU_DEP_1)
	v_mov_b32_dpp v2, v2 row_shr:1 row_mask:0xf bank_mask:0xf
	v_cndmask_b32_e64 v2, v2, 0, vcc_lo
	s_delay_alu instid0(VALU_DEP_1) | instskip(NEXT) | instid1(VALU_DEP_1)
	v_add_nc_u16 v0, v2, v0
	v_and_b32_e32 v2, 0xff, v0
	s_delay_alu instid0(VALU_DEP_1) | instskip(NEXT) | instid1(VALU_DEP_1)
	v_mov_b32_dpp v2, v2 row_shr:2 row_mask:0xf bank_mask:0xf
	v_cndmask_b32_e64 v2, 0, v2, s0
	s_delay_alu instid0(VALU_DEP_1) | instskip(NEXT) | instid1(VALU_DEP_1)
	v_add_nc_u16 v0, v0, v2
	v_and_b32_e32 v2, 0xff, v0
	s_delay_alu instid0(VALU_DEP_1) | instskip(NEXT) | instid1(VALU_DEP_1)
	v_mov_b32_dpp v2, v2 row_shr:4 row_mask:0xf bank_mask:0xf
	v_cndmask_b32_e64 v2, 0, v2, s1
	;; [unrolled: 6-line block ×3, first 2 shown]
	s_delay_alu instid0(VALU_DEP_1) | instskip(NEXT) | instid1(VALU_DEP_1)
	v_add_nc_u16 v0, v0, v2
	v_and_b32_e32 v2, 0xff, v0
	ds_swizzle_b32 v2, v2 offset:swizzle(BROADCAST,32,15)
	s_waitcnt lgkmcnt(0)
	v_cndmask_b32_e64 v2, v2, 0, s3
	s_delay_alu instid0(VALU_DEP_1)
	v_add_nc_u16 v0, v0, v2
	s_cbranch_scc1 .LBB25_1
; %bb.2:
	s_set_inst_prefetch_distance 0x2
	v_add_co_u32 v1, s0, s6, v1
	s_delay_alu instid0(VALU_DEP_1)
	v_add_co_ci_u32_e64 v2, null, s7, 0, s0
	global_store_b8 v[1:2], v0, off
	s_nop 0
	s_sendmsg sendmsg(MSG_DEALLOC_VGPRS)
	s_endpgm
	.section	.rodata,"a",@progbits
	.p2align	6, 0x0
	.amdhsa_kernel _Z6kernelI14inclusive_scanhLj32ELj100EEvPKT0_PS1_S1_
		.amdhsa_group_segment_fixed_size 0
		.amdhsa_private_segment_fixed_size 0
		.amdhsa_kernarg_size 280
		.amdhsa_user_sgpr_count 15
		.amdhsa_user_sgpr_dispatch_ptr 0
		.amdhsa_user_sgpr_queue_ptr 0
		.amdhsa_user_sgpr_kernarg_segment_ptr 1
		.amdhsa_user_sgpr_dispatch_id 0
		.amdhsa_user_sgpr_private_segment_size 0
		.amdhsa_wavefront_size32 1
		.amdhsa_uses_dynamic_stack 0
		.amdhsa_enable_private_segment 0
		.amdhsa_system_sgpr_workgroup_id_x 1
		.amdhsa_system_sgpr_workgroup_id_y 0
		.amdhsa_system_sgpr_workgroup_id_z 0
		.amdhsa_system_sgpr_workgroup_info 0
		.amdhsa_system_vgpr_workitem_id 0
		.amdhsa_next_free_vgpr 4
		.amdhsa_next_free_sgpr 16
		.amdhsa_reserve_vcc 1
		.amdhsa_float_round_mode_32 0
		.amdhsa_float_round_mode_16_64 0
		.amdhsa_float_denorm_mode_32 3
		.amdhsa_float_denorm_mode_16_64 3
		.amdhsa_dx10_clamp 1
		.amdhsa_ieee_mode 1
		.amdhsa_fp16_overflow 0
		.amdhsa_workgroup_processor_mode 1
		.amdhsa_memory_ordered 1
		.amdhsa_forward_progress 0
		.amdhsa_shared_vgpr_count 0
		.amdhsa_exception_fp_ieee_invalid_op 0
		.amdhsa_exception_fp_denorm_src 0
		.amdhsa_exception_fp_ieee_div_zero 0
		.amdhsa_exception_fp_ieee_overflow 0
		.amdhsa_exception_fp_ieee_underflow 0
		.amdhsa_exception_fp_ieee_inexact 0
		.amdhsa_exception_int_div_zero 0
	.end_amdhsa_kernel
	.section	.text._Z6kernelI14inclusive_scanhLj32ELj100EEvPKT0_PS1_S1_,"axG",@progbits,_Z6kernelI14inclusive_scanhLj32ELj100EEvPKT0_PS1_S1_,comdat
.Lfunc_end25:
	.size	_Z6kernelI14inclusive_scanhLj32ELj100EEvPKT0_PS1_S1_, .Lfunc_end25-_Z6kernelI14inclusive_scanhLj32ELj100EEvPKT0_PS1_S1_
                                        ; -- End function
	.section	.AMDGPU.csdata,"",@progbits
; Kernel info:
; codeLenInByte = 376
; NumSgprs: 18
; NumVgprs: 4
; ScratchSize: 0
; MemoryBound: 0
; FloatMode: 240
; IeeeMode: 1
; LDSByteSize: 0 bytes/workgroup (compile time only)
; SGPRBlocks: 2
; VGPRBlocks: 0
; NumSGPRsForWavesPerEU: 18
; NumVGPRsForWavesPerEU: 4
; Occupancy: 16
; WaveLimiterHint : 0
; COMPUTE_PGM_RSRC2:SCRATCH_EN: 0
; COMPUTE_PGM_RSRC2:USER_SGPR: 15
; COMPUTE_PGM_RSRC2:TRAP_HANDLER: 0
; COMPUTE_PGM_RSRC2:TGID_X_EN: 1
; COMPUTE_PGM_RSRC2:TGID_Y_EN: 0
; COMPUTE_PGM_RSRC2:TGID_Z_EN: 0
; COMPUTE_PGM_RSRC2:TIDIG_COMP_CNT: 0
	.section	.text._Z6kernelI14inclusive_scanhLj16ELj100EEvPKT0_PS1_S1_,"axG",@progbits,_Z6kernelI14inclusive_scanhLj16ELj100EEvPKT0_PS1_S1_,comdat
	.protected	_Z6kernelI14inclusive_scanhLj16ELj100EEvPKT0_PS1_S1_ ; -- Begin function _Z6kernelI14inclusive_scanhLj16ELj100EEvPKT0_PS1_S1_
	.globl	_Z6kernelI14inclusive_scanhLj16ELj100EEvPKT0_PS1_S1_
	.p2align	8
	.type	_Z6kernelI14inclusive_scanhLj16ELj100EEvPKT0_PS1_S1_,@function
_Z6kernelI14inclusive_scanhLj16ELj100EEvPKT0_PS1_S1_: ; @_Z6kernelI14inclusive_scanhLj16ELj100EEvPKT0_PS1_S1_
; %bb.0:
	s_clause 0x1
	s_load_b32 s2, s[0:1], 0x24
	s_load_b128 s[4:7], s[0:1], 0x0
	s_movk_i32 s3, 0x64
	s_waitcnt lgkmcnt(0)
	s_and_b32 s0, s2, 0xffff
	s_delay_alu instid0(SALU_CYCLE_1) | instskip(SKIP_1) | instid1(VALU_DEP_1)
	v_mad_u64_u32 v[1:2], null, s15, s0, v[0:1]
	v_mbcnt_lo_u32_b32 v2, -1, 0
	v_and_b32_e32 v2, 15, v2
	global_load_u8 v0, v1, s[4:5]
	v_cmp_eq_u32_e32 vcc_lo, 0, v2
	v_cmp_lt_u32_e64 s0, 1, v2
	v_cmp_lt_u32_e64 s1, 3, v2
	;; [unrolled: 1-line block ×3, first 2 shown]
	s_set_inst_prefetch_distance 0x1
	.p2align	6
.LBB26_1:                               ; =>This Inner Loop Header: Depth=1
	s_waitcnt vmcnt(0)
	s_delay_alu instid0(VALU_DEP_1) | instskip(SKIP_1) | instid1(SALU_CYCLE_1)
	v_and_b32_e32 v2, 0xff, v0
	s_add_i32 s3, s3, -1
	s_cmp_lg_u32 s3, 0
	s_delay_alu instid0(VALU_DEP_1) | instskip(NEXT) | instid1(VALU_DEP_1)
	v_mov_b32_dpp v2, v2 row_shr:1 row_mask:0xf bank_mask:0xf
	v_cndmask_b32_e64 v2, v2, 0, vcc_lo
	s_delay_alu instid0(VALU_DEP_1) | instskip(NEXT) | instid1(VALU_DEP_1)
	v_add_nc_u16 v0, v2, v0
	v_and_b32_e32 v2, 0xff, v0
	s_delay_alu instid0(VALU_DEP_1) | instskip(NEXT) | instid1(VALU_DEP_1)
	v_mov_b32_dpp v2, v2 row_shr:2 row_mask:0xf bank_mask:0xf
	v_cndmask_b32_e64 v2, 0, v2, s0
	s_delay_alu instid0(VALU_DEP_1) | instskip(NEXT) | instid1(VALU_DEP_1)
	v_add_nc_u16 v0, v0, v2
	v_and_b32_e32 v2, 0xff, v0
	s_delay_alu instid0(VALU_DEP_1) | instskip(NEXT) | instid1(VALU_DEP_1)
	v_mov_b32_dpp v2, v2 row_shr:4 row_mask:0xf bank_mask:0xf
	v_cndmask_b32_e64 v2, 0, v2, s1
	;; [unrolled: 6-line block ×3, first 2 shown]
	s_delay_alu instid0(VALU_DEP_1)
	v_add_nc_u16 v0, v0, v2
	s_cbranch_scc1 .LBB26_1
; %bb.2:
	s_set_inst_prefetch_distance 0x2
	v_add_co_u32 v1, s0, s6, v1
	s_delay_alu instid0(VALU_DEP_1)
	v_add_co_ci_u32_e64 v2, null, s7, 0, s0
	global_store_b8 v[1:2], v0, off
	s_nop 0
	s_sendmsg sendmsg(MSG_DEALLOC_VGPRS)
	s_endpgm
	.section	.rodata,"a",@progbits
	.p2align	6, 0x0
	.amdhsa_kernel _Z6kernelI14inclusive_scanhLj16ELj100EEvPKT0_PS1_S1_
		.amdhsa_group_segment_fixed_size 0
		.amdhsa_private_segment_fixed_size 0
		.amdhsa_kernarg_size 280
		.amdhsa_user_sgpr_count 15
		.amdhsa_user_sgpr_dispatch_ptr 0
		.amdhsa_user_sgpr_queue_ptr 0
		.amdhsa_user_sgpr_kernarg_segment_ptr 1
		.amdhsa_user_sgpr_dispatch_id 0
		.amdhsa_user_sgpr_private_segment_size 0
		.amdhsa_wavefront_size32 1
		.amdhsa_uses_dynamic_stack 0
		.amdhsa_enable_private_segment 0
		.amdhsa_system_sgpr_workgroup_id_x 1
		.amdhsa_system_sgpr_workgroup_id_y 0
		.amdhsa_system_sgpr_workgroup_id_z 0
		.amdhsa_system_sgpr_workgroup_info 0
		.amdhsa_system_vgpr_workitem_id 0
		.amdhsa_next_free_vgpr 3
		.amdhsa_next_free_sgpr 16
		.amdhsa_reserve_vcc 1
		.amdhsa_float_round_mode_32 0
		.amdhsa_float_round_mode_16_64 0
		.amdhsa_float_denorm_mode_32 3
		.amdhsa_float_denorm_mode_16_64 3
		.amdhsa_dx10_clamp 1
		.amdhsa_ieee_mode 1
		.amdhsa_fp16_overflow 0
		.amdhsa_workgroup_processor_mode 1
		.amdhsa_memory_ordered 1
		.amdhsa_forward_progress 0
		.amdhsa_shared_vgpr_count 0
		.amdhsa_exception_fp_ieee_invalid_op 0
		.amdhsa_exception_fp_denorm_src 0
		.amdhsa_exception_fp_ieee_div_zero 0
		.amdhsa_exception_fp_ieee_overflow 0
		.amdhsa_exception_fp_ieee_underflow 0
		.amdhsa_exception_fp_ieee_inexact 0
		.amdhsa_exception_int_div_zero 0
	.end_amdhsa_kernel
	.section	.text._Z6kernelI14inclusive_scanhLj16ELj100EEvPKT0_PS1_S1_,"axG",@progbits,_Z6kernelI14inclusive_scanhLj16ELj100EEvPKT0_PS1_S1_,comdat
.Lfunc_end26:
	.size	_Z6kernelI14inclusive_scanhLj16ELj100EEvPKT0_PS1_S1_, .Lfunc_end26-_Z6kernelI14inclusive_scanhLj16ELj100EEvPKT0_PS1_S1_
                                        ; -- End function
	.section	.AMDGPU.csdata,"",@progbits
; Kernel info:
; codeLenInByte = 324
; NumSgprs: 18
; NumVgprs: 3
; ScratchSize: 0
; MemoryBound: 0
; FloatMode: 240
; IeeeMode: 1
; LDSByteSize: 0 bytes/workgroup (compile time only)
; SGPRBlocks: 2
; VGPRBlocks: 0
; NumSGPRsForWavesPerEU: 18
; NumVGPRsForWavesPerEU: 3
; Occupancy: 16
; WaveLimiterHint : 0
; COMPUTE_PGM_RSRC2:SCRATCH_EN: 0
; COMPUTE_PGM_RSRC2:USER_SGPR: 15
; COMPUTE_PGM_RSRC2:TRAP_HANDLER: 0
; COMPUTE_PGM_RSRC2:TGID_X_EN: 1
; COMPUTE_PGM_RSRC2:TGID_Y_EN: 0
; COMPUTE_PGM_RSRC2:TGID_Z_EN: 0
; COMPUTE_PGM_RSRC2:TIDIG_COMP_CNT: 0
	.section	.text._Z6kernelI14inclusive_scanhLj63ELj100EEvPKT0_PS1_S1_,"axG",@progbits,_Z6kernelI14inclusive_scanhLj63ELj100EEvPKT0_PS1_S1_,comdat
	.protected	_Z6kernelI14inclusive_scanhLj63ELj100EEvPKT0_PS1_S1_ ; -- Begin function _Z6kernelI14inclusive_scanhLj63ELj100EEvPKT0_PS1_S1_
	.globl	_Z6kernelI14inclusive_scanhLj63ELj100EEvPKT0_PS1_S1_
	.p2align	8
	.type	_Z6kernelI14inclusive_scanhLj63ELj100EEvPKT0_PS1_S1_,@function
_Z6kernelI14inclusive_scanhLj63ELj100EEvPKT0_PS1_S1_: ; @_Z6kernelI14inclusive_scanhLj63ELj100EEvPKT0_PS1_S1_
; %bb.0:
	s_clause 0x1
	s_load_b32 s4, s[0:1], 0x24
	s_load_b128 s[0:3], s[0:1], 0x0
	s_waitcnt lgkmcnt(0)
	s_and_b32 s4, s4, 0xffff
	s_delay_alu instid0(SALU_CYCLE_1)
	v_mad_u64_u32 v[1:2], null, s15, s4, v[0:1]
	global_load_u8 v0, v1, s[0:1]
	s_waitcnt vmcnt(0)
	global_store_b8 v1, v0, s[2:3]
	s_nop 0
	s_sendmsg sendmsg(MSG_DEALLOC_VGPRS)
	s_endpgm
	.section	.rodata,"a",@progbits
	.p2align	6, 0x0
	.amdhsa_kernel _Z6kernelI14inclusive_scanhLj63ELj100EEvPKT0_PS1_S1_
		.amdhsa_group_segment_fixed_size 0
		.amdhsa_private_segment_fixed_size 0
		.amdhsa_kernarg_size 280
		.amdhsa_user_sgpr_count 15
		.amdhsa_user_sgpr_dispatch_ptr 0
		.amdhsa_user_sgpr_queue_ptr 0
		.amdhsa_user_sgpr_kernarg_segment_ptr 1
		.amdhsa_user_sgpr_dispatch_id 0
		.amdhsa_user_sgpr_private_segment_size 0
		.amdhsa_wavefront_size32 1
		.amdhsa_uses_dynamic_stack 0
		.amdhsa_enable_private_segment 0
		.amdhsa_system_sgpr_workgroup_id_x 1
		.amdhsa_system_sgpr_workgroup_id_y 0
		.amdhsa_system_sgpr_workgroup_id_z 0
		.amdhsa_system_sgpr_workgroup_info 0
		.amdhsa_system_vgpr_workitem_id 0
		.amdhsa_next_free_vgpr 3
		.amdhsa_next_free_sgpr 16
		.amdhsa_reserve_vcc 0
		.amdhsa_float_round_mode_32 0
		.amdhsa_float_round_mode_16_64 0
		.amdhsa_float_denorm_mode_32 3
		.amdhsa_float_denorm_mode_16_64 3
		.amdhsa_dx10_clamp 1
		.amdhsa_ieee_mode 1
		.amdhsa_fp16_overflow 0
		.amdhsa_workgroup_processor_mode 1
		.amdhsa_memory_ordered 1
		.amdhsa_forward_progress 0
		.amdhsa_shared_vgpr_count 0
		.amdhsa_exception_fp_ieee_invalid_op 0
		.amdhsa_exception_fp_denorm_src 0
		.amdhsa_exception_fp_ieee_div_zero 0
		.amdhsa_exception_fp_ieee_overflow 0
		.amdhsa_exception_fp_ieee_underflow 0
		.amdhsa_exception_fp_ieee_inexact 0
		.amdhsa_exception_int_div_zero 0
	.end_amdhsa_kernel
	.section	.text._Z6kernelI14inclusive_scanhLj63ELj100EEvPKT0_PS1_S1_,"axG",@progbits,_Z6kernelI14inclusive_scanhLj63ELj100EEvPKT0_PS1_S1_,comdat
.Lfunc_end27:
	.size	_Z6kernelI14inclusive_scanhLj63ELj100EEvPKT0_PS1_S1_, .Lfunc_end27-_Z6kernelI14inclusive_scanhLj63ELj100EEvPKT0_PS1_S1_
                                        ; -- End function
	.section	.AMDGPU.csdata,"",@progbits
; Kernel info:
; codeLenInByte = 76
; NumSgprs: 16
; NumVgprs: 3
; ScratchSize: 0
; MemoryBound: 0
; FloatMode: 240
; IeeeMode: 1
; LDSByteSize: 0 bytes/workgroup (compile time only)
; SGPRBlocks: 1
; VGPRBlocks: 0
; NumSGPRsForWavesPerEU: 16
; NumVGPRsForWavesPerEU: 3
; Occupancy: 16
; WaveLimiterHint : 0
; COMPUTE_PGM_RSRC2:SCRATCH_EN: 0
; COMPUTE_PGM_RSRC2:USER_SGPR: 15
; COMPUTE_PGM_RSRC2:TRAP_HANDLER: 0
; COMPUTE_PGM_RSRC2:TGID_X_EN: 1
; COMPUTE_PGM_RSRC2:TGID_Y_EN: 0
; COMPUTE_PGM_RSRC2:TGID_Z_EN: 0
; COMPUTE_PGM_RSRC2:TIDIG_COMP_CNT: 0
	.section	.text._Z6kernelI14inclusive_scanhLj31ELj100EEvPKT0_PS1_S1_,"axG",@progbits,_Z6kernelI14inclusive_scanhLj31ELj100EEvPKT0_PS1_S1_,comdat
	.protected	_Z6kernelI14inclusive_scanhLj31ELj100EEvPKT0_PS1_S1_ ; -- Begin function _Z6kernelI14inclusive_scanhLj31ELj100EEvPKT0_PS1_S1_
	.globl	_Z6kernelI14inclusive_scanhLj31ELj100EEvPKT0_PS1_S1_
	.p2align	8
	.type	_Z6kernelI14inclusive_scanhLj31ELj100EEvPKT0_PS1_S1_,@function
_Z6kernelI14inclusive_scanhLj31ELj100EEvPKT0_PS1_S1_: ; @_Z6kernelI14inclusive_scanhLj31ELj100EEvPKT0_PS1_S1_
; %bb.0:
	s_clause 0x1
	s_load_b32 s2, s[0:1], 0x24
	s_load_b128 s[4:7], s[0:1], 0x0
	s_waitcnt lgkmcnt(0)
	s_and_b32 s0, s2, 0xffff
	s_delay_alu instid0(SALU_CYCLE_1) | instskip(SKIP_1) | instid1(VALU_DEP_1)
	v_mad_u64_u32 v[1:2], null, s15, s0, v[0:1]
	v_mbcnt_lo_u32_b32 v2, -1, 0
	v_mul_hi_u32 v3, 0x8421085, v2
	global_load_u8 v0, v1, s[4:5]
	s_movk_i32 s4, 0x64
	v_mul_u32_u24_e32 v3, 31, v3
	s_delay_alu instid0(VALU_DEP_1) | instskip(NEXT) | instid1(VALU_DEP_1)
	v_sub_nc_u32_e32 v2, v2, v3
	v_cmp_ne_u32_e32 vcc_lo, 0, v2
	v_cmp_lt_u32_e64 s0, 1, v2
	v_cmp_lt_u32_e64 s1, 3, v2
	;; [unrolled: 1-line block ×4, first 2 shown]
	v_add_nc_u32_e32 v3, -1, v2
	v_add_nc_u32_e32 v4, -2, v2
	;; [unrolled: 1-line block ×5, first 2 shown]
	s_branch .LBB28_2
.LBB28_1:                               ;   in Loop: Header=BB28_2 Depth=1
	s_or_b32 exec_lo, exec_lo, s5
	s_add_i32 s4, s4, -1
	s_delay_alu instid0(SALU_CYCLE_1)
	s_cmp_lg_u32 s4, 0
	; wave barrier
	s_cbranch_scc0 .LBB28_22
.LBB28_2:                               ; =>This Inner Loop Header: Depth=1
	s_waitcnt vmcnt(0)
	ds_store_b8 v2, v0
	; wave barrier
	s_and_saveexec_b32 s5, vcc_lo
	s_cbranch_execz .LBB28_4
; %bb.3:                                ;   in Loop: Header=BB28_2 Depth=1
	ds_load_u8 v8, v3
	s_waitcnt lgkmcnt(0)
	v_add_nc_u16 v0, v8, v0
.LBB28_4:                               ;   in Loop: Header=BB28_2 Depth=1
	s_or_b32 exec_lo, exec_lo, s5
	; wave barrier
	s_and_saveexec_b32 s5, vcc_lo
	s_cbranch_execz .LBB28_6
; %bb.5:                                ;   in Loop: Header=BB28_2 Depth=1
	ds_store_b8 v2, v0
.LBB28_6:                               ;   in Loop: Header=BB28_2 Depth=1
	s_or_b32 exec_lo, exec_lo, s5
	; wave barrier
	s_and_saveexec_b32 s5, s0
	s_cbranch_execz .LBB28_8
; %bb.7:                                ;   in Loop: Header=BB28_2 Depth=1
	ds_load_u8 v8, v4
	s_waitcnt lgkmcnt(0)
	v_add_nc_u16 v0, v8, v0
.LBB28_8:                               ;   in Loop: Header=BB28_2 Depth=1
	s_or_b32 exec_lo, exec_lo, s5
	; wave barrier
	s_and_saveexec_b32 s5, s0
	s_cbranch_execz .LBB28_10
; %bb.9:                                ;   in Loop: Header=BB28_2 Depth=1
	ds_store_b8 v2, v0
.LBB28_10:                              ;   in Loop: Header=BB28_2 Depth=1
	s_or_b32 exec_lo, exec_lo, s5
	; wave barrier
	s_and_saveexec_b32 s5, s1
	s_cbranch_execz .LBB28_12
; %bb.11:                               ;   in Loop: Header=BB28_2 Depth=1
	ds_load_u8 v8, v5
	s_waitcnt lgkmcnt(0)
	v_add_nc_u16 v0, v8, v0
.LBB28_12:                              ;   in Loop: Header=BB28_2 Depth=1
	s_or_b32 exec_lo, exec_lo, s5
	; wave barrier
	s_and_saveexec_b32 s5, s1
	s_cbranch_execz .LBB28_14
; %bb.13:                               ;   in Loop: Header=BB28_2 Depth=1
	ds_store_b8 v2, v0
.LBB28_14:                              ;   in Loop: Header=BB28_2 Depth=1
	s_or_b32 exec_lo, exec_lo, s5
	; wave barrier
	s_and_saveexec_b32 s5, s2
	s_cbranch_execz .LBB28_16
; %bb.15:                               ;   in Loop: Header=BB28_2 Depth=1
	ds_load_u8 v8, v6
	s_waitcnt lgkmcnt(0)
	v_add_nc_u16 v0, v8, v0
.LBB28_16:                              ;   in Loop: Header=BB28_2 Depth=1
	s_or_b32 exec_lo, exec_lo, s5
	; wave barrier
	s_and_saveexec_b32 s5, s2
	s_cbranch_execz .LBB28_18
; %bb.17:                               ;   in Loop: Header=BB28_2 Depth=1
	ds_store_b8 v2, v0
.LBB28_18:                              ;   in Loop: Header=BB28_2 Depth=1
	s_or_b32 exec_lo, exec_lo, s5
	; wave barrier
	s_and_saveexec_b32 s5, s3
	s_cbranch_execz .LBB28_20
; %bb.19:                               ;   in Loop: Header=BB28_2 Depth=1
	ds_load_u8 v8, v7
	s_waitcnt lgkmcnt(0)
	v_add_nc_u16 v0, v8, v0
.LBB28_20:                              ;   in Loop: Header=BB28_2 Depth=1
	s_or_b32 exec_lo, exec_lo, s5
	; wave barrier
	s_and_saveexec_b32 s5, s3
	s_cbranch_execz .LBB28_1
; %bb.21:                               ;   in Loop: Header=BB28_2 Depth=1
	ds_store_b8 v2, v0
	s_branch .LBB28_1
.LBB28_22:
	v_add_co_u32 v1, s0, s6, v1
	s_delay_alu instid0(VALU_DEP_1)
	v_add_co_ci_u32_e64 v2, null, s7, 0, s0
	global_store_b8 v[1:2], v0, off
	s_nop 0
	s_sendmsg sendmsg(MSG_DEALLOC_VGPRS)
	s_endpgm
	.section	.rodata,"a",@progbits
	.p2align	6, 0x0
	.amdhsa_kernel _Z6kernelI14inclusive_scanhLj31ELj100EEvPKT0_PS1_S1_
		.amdhsa_group_segment_fixed_size 31
		.amdhsa_private_segment_fixed_size 0
		.amdhsa_kernarg_size 280
		.amdhsa_user_sgpr_count 15
		.amdhsa_user_sgpr_dispatch_ptr 0
		.amdhsa_user_sgpr_queue_ptr 0
		.amdhsa_user_sgpr_kernarg_segment_ptr 1
		.amdhsa_user_sgpr_dispatch_id 0
		.amdhsa_user_sgpr_private_segment_size 0
		.amdhsa_wavefront_size32 1
		.amdhsa_uses_dynamic_stack 0
		.amdhsa_enable_private_segment 0
		.amdhsa_system_sgpr_workgroup_id_x 1
		.amdhsa_system_sgpr_workgroup_id_y 0
		.amdhsa_system_sgpr_workgroup_id_z 0
		.amdhsa_system_sgpr_workgroup_info 0
		.amdhsa_system_vgpr_workitem_id 0
		.amdhsa_next_free_vgpr 9
		.amdhsa_next_free_sgpr 16
		.amdhsa_reserve_vcc 1
		.amdhsa_float_round_mode_32 0
		.amdhsa_float_round_mode_16_64 0
		.amdhsa_float_denorm_mode_32 3
		.amdhsa_float_denorm_mode_16_64 3
		.amdhsa_dx10_clamp 1
		.amdhsa_ieee_mode 1
		.amdhsa_fp16_overflow 0
		.amdhsa_workgroup_processor_mode 1
		.amdhsa_memory_ordered 1
		.amdhsa_forward_progress 0
		.amdhsa_shared_vgpr_count 0
		.amdhsa_exception_fp_ieee_invalid_op 0
		.amdhsa_exception_fp_denorm_src 0
		.amdhsa_exception_fp_ieee_div_zero 0
		.amdhsa_exception_fp_ieee_overflow 0
		.amdhsa_exception_fp_ieee_underflow 0
		.amdhsa_exception_fp_ieee_inexact 0
		.amdhsa_exception_int_div_zero 0
	.end_amdhsa_kernel
	.section	.text._Z6kernelI14inclusive_scanhLj31ELj100EEvPKT0_PS1_S1_,"axG",@progbits,_Z6kernelI14inclusive_scanhLj31ELj100EEvPKT0_PS1_S1_,comdat
.Lfunc_end28:
	.size	_Z6kernelI14inclusive_scanhLj31ELj100EEvPKT0_PS1_S1_, .Lfunc_end28-_Z6kernelI14inclusive_scanhLj31ELj100EEvPKT0_PS1_S1_
                                        ; -- End function
	.section	.AMDGPU.csdata,"",@progbits
; Kernel info:
; codeLenInByte = 480
; NumSgprs: 18
; NumVgprs: 9
; ScratchSize: 0
; MemoryBound: 0
; FloatMode: 240
; IeeeMode: 1
; LDSByteSize: 31 bytes/workgroup (compile time only)
; SGPRBlocks: 2
; VGPRBlocks: 1
; NumSGPRsForWavesPerEU: 18
; NumVGPRsForWavesPerEU: 9
; Occupancy: 16
; WaveLimiterHint : 0
; COMPUTE_PGM_RSRC2:SCRATCH_EN: 0
; COMPUTE_PGM_RSRC2:USER_SGPR: 15
; COMPUTE_PGM_RSRC2:TRAP_HANDLER: 0
; COMPUTE_PGM_RSRC2:TGID_X_EN: 1
; COMPUTE_PGM_RSRC2:TGID_Y_EN: 0
; COMPUTE_PGM_RSRC2:TGID_Z_EN: 0
; COMPUTE_PGM_RSRC2:TIDIG_COMP_CNT: 0
	.section	.text._Z6kernelI14inclusive_scanhLj15ELj100EEvPKT0_PS1_S1_,"axG",@progbits,_Z6kernelI14inclusive_scanhLj15ELj100EEvPKT0_PS1_S1_,comdat
	.protected	_Z6kernelI14inclusive_scanhLj15ELj100EEvPKT0_PS1_S1_ ; -- Begin function _Z6kernelI14inclusive_scanhLj15ELj100EEvPKT0_PS1_S1_
	.globl	_Z6kernelI14inclusive_scanhLj15ELj100EEvPKT0_PS1_S1_
	.p2align	8
	.type	_Z6kernelI14inclusive_scanhLj15ELj100EEvPKT0_PS1_S1_,@function
_Z6kernelI14inclusive_scanhLj15ELj100EEvPKT0_PS1_S1_: ; @_Z6kernelI14inclusive_scanhLj15ELj100EEvPKT0_PS1_S1_
; %bb.0:
	s_clause 0x1
	s_load_b32 s2, s[0:1], 0x24
	s_load_b128 s[4:7], s[0:1], 0x0
	s_movk_i32 s3, 0x64
	s_waitcnt lgkmcnt(0)
	s_and_b32 s0, s2, 0xffff
	s_delay_alu instid0(SALU_CYCLE_1) | instskip(SKIP_1) | instid1(VALU_DEP_1)
	v_mad_u64_u32 v[1:2], null, s15, s0, v[0:1]
	v_mbcnt_lo_u32_b32 v2, -1, 0
	v_mul_hi_u32 v3, 0x11111112, v2
	global_load_u8 v0, v1, s[4:5]
	v_mul_u32_u24_e32 v3, 15, v3
	s_delay_alu instid0(VALU_DEP_1) | instskip(NEXT) | instid1(VALU_DEP_1)
	v_sub_nc_u32_e32 v2, v2, v3
	v_cmp_ne_u32_e32 vcc_lo, 0, v2
	v_cmp_lt_u32_e64 s0, 1, v2
	v_cmp_lt_u32_e64 s1, 3, v2
	;; [unrolled: 1-line block ×3, first 2 shown]
	v_add_nc_u32_e32 v3, -1, v2
	v_add_nc_u32_e32 v4, -2, v2
	;; [unrolled: 1-line block ×4, first 2 shown]
	s_branch .LBB29_2
.LBB29_1:                               ;   in Loop: Header=BB29_2 Depth=1
	s_or_b32 exec_lo, exec_lo, s4
	s_add_i32 s3, s3, -1
	s_delay_alu instid0(SALU_CYCLE_1)
	s_cmp_lg_u32 s3, 0
	; wave barrier
	s_cbranch_scc0 .LBB29_18
.LBB29_2:                               ; =>This Inner Loop Header: Depth=1
	s_waitcnt vmcnt(0)
	ds_store_b8 v2, v0
	; wave barrier
	s_and_saveexec_b32 s4, vcc_lo
	s_cbranch_execz .LBB29_4
; %bb.3:                                ;   in Loop: Header=BB29_2 Depth=1
	ds_load_u8 v7, v3
	s_waitcnt lgkmcnt(0)
	v_add_nc_u16 v0, v7, v0
.LBB29_4:                               ;   in Loop: Header=BB29_2 Depth=1
	s_or_b32 exec_lo, exec_lo, s4
	; wave barrier
	s_and_saveexec_b32 s4, vcc_lo
	s_cbranch_execz .LBB29_6
; %bb.5:                                ;   in Loop: Header=BB29_2 Depth=1
	ds_store_b8 v2, v0
.LBB29_6:                               ;   in Loop: Header=BB29_2 Depth=1
	s_or_b32 exec_lo, exec_lo, s4
	; wave barrier
	s_and_saveexec_b32 s4, s0
	s_cbranch_execz .LBB29_8
; %bb.7:                                ;   in Loop: Header=BB29_2 Depth=1
	ds_load_u8 v7, v4
	s_waitcnt lgkmcnt(0)
	v_add_nc_u16 v0, v7, v0
.LBB29_8:                               ;   in Loop: Header=BB29_2 Depth=1
	s_or_b32 exec_lo, exec_lo, s4
	; wave barrier
	s_and_saveexec_b32 s4, s0
	s_cbranch_execz .LBB29_10
; %bb.9:                                ;   in Loop: Header=BB29_2 Depth=1
	ds_store_b8 v2, v0
.LBB29_10:                              ;   in Loop: Header=BB29_2 Depth=1
	s_or_b32 exec_lo, exec_lo, s4
	; wave barrier
	s_and_saveexec_b32 s4, s1
	s_cbranch_execz .LBB29_12
; %bb.11:                               ;   in Loop: Header=BB29_2 Depth=1
	ds_load_u8 v7, v5
	s_waitcnt lgkmcnt(0)
	v_add_nc_u16 v0, v7, v0
.LBB29_12:                              ;   in Loop: Header=BB29_2 Depth=1
	s_or_b32 exec_lo, exec_lo, s4
	; wave barrier
	s_and_saveexec_b32 s4, s1
	s_cbranch_execz .LBB29_14
; %bb.13:                               ;   in Loop: Header=BB29_2 Depth=1
	ds_store_b8 v2, v0
.LBB29_14:                              ;   in Loop: Header=BB29_2 Depth=1
	s_or_b32 exec_lo, exec_lo, s4
	; wave barrier
	s_and_saveexec_b32 s4, s2
	s_cbranch_execz .LBB29_16
; %bb.15:                               ;   in Loop: Header=BB29_2 Depth=1
	ds_load_u8 v7, v6
	s_waitcnt lgkmcnt(0)
	v_add_nc_u16 v0, v7, v0
.LBB29_16:                              ;   in Loop: Header=BB29_2 Depth=1
	s_or_b32 exec_lo, exec_lo, s4
	; wave barrier
	s_and_saveexec_b32 s4, s2
	s_cbranch_execz .LBB29_1
; %bb.17:                               ;   in Loop: Header=BB29_2 Depth=1
	ds_store_b8 v2, v0
	s_branch .LBB29_1
.LBB29_18:
	v_add_co_u32 v1, s0, s6, v1
	s_delay_alu instid0(VALU_DEP_1)
	v_add_co_ci_u32_e64 v2, null, s7, 0, s0
	global_store_b8 v[1:2], v0, off
	s_nop 0
	s_sendmsg sendmsg(MSG_DEALLOC_VGPRS)
	s_endpgm
	.section	.rodata,"a",@progbits
	.p2align	6, 0x0
	.amdhsa_kernel _Z6kernelI14inclusive_scanhLj15ELj100EEvPKT0_PS1_S1_
		.amdhsa_group_segment_fixed_size 15
		.amdhsa_private_segment_fixed_size 0
		.amdhsa_kernarg_size 280
		.amdhsa_user_sgpr_count 15
		.amdhsa_user_sgpr_dispatch_ptr 0
		.amdhsa_user_sgpr_queue_ptr 0
		.amdhsa_user_sgpr_kernarg_segment_ptr 1
		.amdhsa_user_sgpr_dispatch_id 0
		.amdhsa_user_sgpr_private_segment_size 0
		.amdhsa_wavefront_size32 1
		.amdhsa_uses_dynamic_stack 0
		.amdhsa_enable_private_segment 0
		.amdhsa_system_sgpr_workgroup_id_x 1
		.amdhsa_system_sgpr_workgroup_id_y 0
		.amdhsa_system_sgpr_workgroup_id_z 0
		.amdhsa_system_sgpr_workgroup_info 0
		.amdhsa_system_vgpr_workitem_id 0
		.amdhsa_next_free_vgpr 8
		.amdhsa_next_free_sgpr 16
		.amdhsa_reserve_vcc 1
		.amdhsa_float_round_mode_32 0
		.amdhsa_float_round_mode_16_64 0
		.amdhsa_float_denorm_mode_32 3
		.amdhsa_float_denorm_mode_16_64 3
		.amdhsa_dx10_clamp 1
		.amdhsa_ieee_mode 1
		.amdhsa_fp16_overflow 0
		.amdhsa_workgroup_processor_mode 1
		.amdhsa_memory_ordered 1
		.amdhsa_forward_progress 0
		.amdhsa_shared_vgpr_count 0
		.amdhsa_exception_fp_ieee_invalid_op 0
		.amdhsa_exception_fp_denorm_src 0
		.amdhsa_exception_fp_ieee_div_zero 0
		.amdhsa_exception_fp_ieee_overflow 0
		.amdhsa_exception_fp_ieee_underflow 0
		.amdhsa_exception_fp_ieee_inexact 0
		.amdhsa_exception_int_div_zero 0
	.end_amdhsa_kernel
	.section	.text._Z6kernelI14inclusive_scanhLj15ELj100EEvPKT0_PS1_S1_,"axG",@progbits,_Z6kernelI14inclusive_scanhLj15ELj100EEvPKT0_PS1_S1_,comdat
.Lfunc_end29:
	.size	_Z6kernelI14inclusive_scanhLj15ELj100EEvPKT0_PS1_S1_, .Lfunc_end29-_Z6kernelI14inclusive_scanhLj15ELj100EEvPKT0_PS1_S1_
                                        ; -- End function
	.section	.AMDGPU.csdata,"",@progbits
; Kernel info:
; codeLenInByte = 416
; NumSgprs: 18
; NumVgprs: 8
; ScratchSize: 0
; MemoryBound: 0
; FloatMode: 240
; IeeeMode: 1
; LDSByteSize: 15 bytes/workgroup (compile time only)
; SGPRBlocks: 2
; VGPRBlocks: 0
; NumSGPRsForWavesPerEU: 18
; NumVGPRsForWavesPerEU: 8
; Occupancy: 16
; WaveLimiterHint : 0
; COMPUTE_PGM_RSRC2:SCRATCH_EN: 0
; COMPUTE_PGM_RSRC2:USER_SGPR: 15
; COMPUTE_PGM_RSRC2:TRAP_HANDLER: 0
; COMPUTE_PGM_RSRC2:TGID_X_EN: 1
; COMPUTE_PGM_RSRC2:TGID_Y_EN: 0
; COMPUTE_PGM_RSRC2:TGID_Z_EN: 0
; COMPUTE_PGM_RSRC2:TIDIG_COMP_CNT: 0
	.section	.text._Z6kernelI14inclusive_scan6__halfLj64ELj100EEvPKT0_PS2_S2_,"axG",@progbits,_Z6kernelI14inclusive_scan6__halfLj64ELj100EEvPKT0_PS2_S2_,comdat
	.protected	_Z6kernelI14inclusive_scan6__halfLj64ELj100EEvPKT0_PS2_S2_ ; -- Begin function _Z6kernelI14inclusive_scan6__halfLj64ELj100EEvPKT0_PS2_S2_
	.globl	_Z6kernelI14inclusive_scan6__halfLj64ELj100EEvPKT0_PS2_S2_
	.p2align	8
	.type	_Z6kernelI14inclusive_scan6__halfLj64ELj100EEvPKT0_PS2_S2_,@function
_Z6kernelI14inclusive_scan6__halfLj64ELj100EEvPKT0_PS2_S2_: ; @_Z6kernelI14inclusive_scan6__halfLj64ELj100EEvPKT0_PS2_S2_
; %bb.0:
	s_clause 0x1
	s_load_b32 s4, s[0:1], 0x24
	s_load_b128 s[0:3], s[0:1], 0x0
	s_waitcnt lgkmcnt(0)
	s_and_b32 s4, s4, 0xffff
	s_delay_alu instid0(SALU_CYCLE_1) | instskip(SKIP_1) | instid1(VALU_DEP_1)
	v_mad_u64_u32 v[1:2], null, s15, s4, v[0:1]
	v_mov_b32_e32 v2, 0
	v_lshlrev_b64 v[0:1], 1, v[1:2]
	s_delay_alu instid0(VALU_DEP_1) | instskip(NEXT) | instid1(VALU_DEP_2)
	v_add_co_u32 v2, vcc_lo, s0, v0
	v_add_co_ci_u32_e32 v3, vcc_lo, s1, v1, vcc_lo
	v_add_co_u32 v0, vcc_lo, s2, v0
	v_add_co_ci_u32_e32 v1, vcc_lo, s3, v1, vcc_lo
	global_load_u16 v2, v[2:3], off
	s_waitcnt vmcnt(0)
	global_store_b16 v[0:1], v2, off
	s_nop 0
	s_sendmsg sendmsg(MSG_DEALLOC_VGPRS)
	s_endpgm
	.section	.rodata,"a",@progbits
	.p2align	6, 0x0
	.amdhsa_kernel _Z6kernelI14inclusive_scan6__halfLj64ELj100EEvPKT0_PS2_S2_
		.amdhsa_group_segment_fixed_size 0
		.amdhsa_private_segment_fixed_size 0
		.amdhsa_kernarg_size 280
		.amdhsa_user_sgpr_count 15
		.amdhsa_user_sgpr_dispatch_ptr 0
		.amdhsa_user_sgpr_queue_ptr 0
		.amdhsa_user_sgpr_kernarg_segment_ptr 1
		.amdhsa_user_sgpr_dispatch_id 0
		.amdhsa_user_sgpr_private_segment_size 0
		.amdhsa_wavefront_size32 1
		.amdhsa_uses_dynamic_stack 0
		.amdhsa_enable_private_segment 0
		.amdhsa_system_sgpr_workgroup_id_x 1
		.amdhsa_system_sgpr_workgroup_id_y 0
		.amdhsa_system_sgpr_workgroup_id_z 0
		.amdhsa_system_sgpr_workgroup_info 0
		.amdhsa_system_vgpr_workitem_id 0
		.amdhsa_next_free_vgpr 4
		.amdhsa_next_free_sgpr 16
		.amdhsa_reserve_vcc 1
		.amdhsa_float_round_mode_32 0
		.amdhsa_float_round_mode_16_64 0
		.amdhsa_float_denorm_mode_32 3
		.amdhsa_float_denorm_mode_16_64 3
		.amdhsa_dx10_clamp 1
		.amdhsa_ieee_mode 1
		.amdhsa_fp16_overflow 0
		.amdhsa_workgroup_processor_mode 1
		.amdhsa_memory_ordered 1
		.amdhsa_forward_progress 0
		.amdhsa_shared_vgpr_count 0
		.amdhsa_exception_fp_ieee_invalid_op 0
		.amdhsa_exception_fp_denorm_src 0
		.amdhsa_exception_fp_ieee_div_zero 0
		.amdhsa_exception_fp_ieee_overflow 0
		.amdhsa_exception_fp_ieee_underflow 0
		.amdhsa_exception_fp_ieee_inexact 0
		.amdhsa_exception_int_div_zero 0
	.end_amdhsa_kernel
	.section	.text._Z6kernelI14inclusive_scan6__halfLj64ELj100EEvPKT0_PS2_S2_,"axG",@progbits,_Z6kernelI14inclusive_scan6__halfLj64ELj100EEvPKT0_PS2_S2_,comdat
.Lfunc_end30:
	.size	_Z6kernelI14inclusive_scan6__halfLj64ELj100EEvPKT0_PS2_S2_, .Lfunc_end30-_Z6kernelI14inclusive_scan6__halfLj64ELj100EEvPKT0_PS2_S2_
                                        ; -- End function
	.section	.AMDGPU.csdata,"",@progbits
; Kernel info:
; codeLenInByte = 116
; NumSgprs: 18
; NumVgprs: 4
; ScratchSize: 0
; MemoryBound: 0
; FloatMode: 240
; IeeeMode: 1
; LDSByteSize: 0 bytes/workgroup (compile time only)
; SGPRBlocks: 2
; VGPRBlocks: 0
; NumSGPRsForWavesPerEU: 18
; NumVGPRsForWavesPerEU: 4
; Occupancy: 16
; WaveLimiterHint : 0
; COMPUTE_PGM_RSRC2:SCRATCH_EN: 0
; COMPUTE_PGM_RSRC2:USER_SGPR: 15
; COMPUTE_PGM_RSRC2:TRAP_HANDLER: 0
; COMPUTE_PGM_RSRC2:TGID_X_EN: 1
; COMPUTE_PGM_RSRC2:TGID_Y_EN: 0
; COMPUTE_PGM_RSRC2:TGID_Z_EN: 0
; COMPUTE_PGM_RSRC2:TIDIG_COMP_CNT: 0
	.section	.text._Z6kernelI14inclusive_scan6__halfLj32ELj100EEvPKT0_PS2_S2_,"axG",@progbits,_Z6kernelI14inclusive_scan6__halfLj32ELj100EEvPKT0_PS2_S2_,comdat
	.protected	_Z6kernelI14inclusive_scan6__halfLj32ELj100EEvPKT0_PS2_S2_ ; -- Begin function _Z6kernelI14inclusive_scan6__halfLj32ELj100EEvPKT0_PS2_S2_
	.globl	_Z6kernelI14inclusive_scan6__halfLj32ELj100EEvPKT0_PS2_S2_
	.p2align	8
	.type	_Z6kernelI14inclusive_scan6__halfLj32ELj100EEvPKT0_PS2_S2_,@function
_Z6kernelI14inclusive_scan6__halfLj32ELj100EEvPKT0_PS2_S2_: ; @_Z6kernelI14inclusive_scan6__halfLj32ELj100EEvPKT0_PS2_S2_
; %bb.0:
	s_clause 0x1
	s_load_b32 s2, s[0:1], 0x24
	s_load_b128 s[4:7], s[0:1], 0x0
	s_waitcnt lgkmcnt(0)
	s_and_b32 s0, s2, 0xffff
	s_delay_alu instid0(SALU_CYCLE_1) | instskip(SKIP_1) | instid1(VALU_DEP_1)
	v_mad_u64_u32 v[1:2], null, s15, s0, v[0:1]
	v_mov_b32_e32 v2, 0
	v_lshlrev_b64 v[0:1], 1, v[1:2]
	s_delay_alu instid0(VALU_DEP_1) | instskip(NEXT) | instid1(VALU_DEP_2)
	v_add_co_u32 v2, vcc_lo, s4, v0
	v_add_co_ci_u32_e32 v3, vcc_lo, s5, v1, vcc_lo
	s_movk_i32 s4, 0x64
	global_load_u16 v2, v[2:3], off
	v_mbcnt_lo_u32_b32 v3, -1, 0
	s_delay_alu instid0(VALU_DEP_1) | instskip(SKIP_1) | instid1(VALU_DEP_2)
	v_and_b32_e32 v4, 15, v3
	v_and_b32_e32 v3, 16, v3
	v_cmp_eq_u32_e32 vcc_lo, 0, v4
	v_cmp_lt_u32_e64 s0, 1, v4
	v_cmp_lt_u32_e64 s1, 3, v4
	;; [unrolled: 1-line block ×3, first 2 shown]
	v_cmp_eq_u32_e64 s3, 0, v3
	s_set_inst_prefetch_distance 0x1
	.p2align	6
.LBB31_1:                               ; =>This Inner Loop Header: Depth=1
	s_waitcnt vmcnt(0)
	s_delay_alu instid0(VALU_DEP_1) | instskip(SKIP_1) | instid1(SALU_CYCLE_1)
	v_and_b32_e32 v3, 0xffff, v2
	s_add_i32 s4, s4, -1
	s_cmp_lg_u32 s4, 0
	s_delay_alu instid0(VALU_DEP_1) | instskip(NEXT) | instid1(VALU_DEP_1)
	v_mov_b32_dpp v3, v3 row_shr:1 row_mask:0xf bank_mask:0xf
	v_add_f16_e32 v3, v2, v3
	s_delay_alu instid0(VALU_DEP_1) | instskip(NEXT) | instid1(VALU_DEP_1)
	v_cndmask_b32_e32 v2, v3, v2, vcc_lo
	v_and_b32_e32 v3, 0xffff, v2
	s_delay_alu instid0(VALU_DEP_1) | instskip(NEXT) | instid1(VALU_DEP_1)
	v_mov_b32_dpp v3, v3 row_shr:2 row_mask:0xf bank_mask:0xf
	v_add_f16_e32 v3, v2, v3
	s_delay_alu instid0(VALU_DEP_1) | instskip(NEXT) | instid1(VALU_DEP_1)
	v_cndmask_b32_e64 v2, v2, v3, s0
	v_and_b32_e32 v3, 0xffff, v2
	s_delay_alu instid0(VALU_DEP_1) | instskip(NEXT) | instid1(VALU_DEP_1)
	v_mov_b32_dpp v3, v3 row_shr:4 row_mask:0xf bank_mask:0xf
	v_add_f16_e32 v3, v2, v3
	s_delay_alu instid0(VALU_DEP_1) | instskip(NEXT) | instid1(VALU_DEP_1)
	v_cndmask_b32_e64 v2, v2, v3, s1
	;; [unrolled: 6-line block ×3, first 2 shown]
	v_and_b32_e32 v3, 0xffff, v2
	ds_swizzle_b32 v3, v3 offset:swizzle(BROADCAST,32,15)
	s_waitcnt lgkmcnt(0)
	v_add_f16_e32 v3, v2, v3
	s_delay_alu instid0(VALU_DEP_1)
	v_cndmask_b32_e64 v2, v3, v2, s3
	s_cbranch_scc1 .LBB31_1
; %bb.2:
	s_set_inst_prefetch_distance 0x2
	v_add_co_u32 v0, vcc_lo, s6, v0
	v_add_co_ci_u32_e32 v1, vcc_lo, s7, v1, vcc_lo
	global_store_b16 v[0:1], v2, off
	s_nop 0
	s_sendmsg sendmsg(MSG_DEALLOC_VGPRS)
	s_endpgm
	.section	.rodata,"a",@progbits
	.p2align	6, 0x0
	.amdhsa_kernel _Z6kernelI14inclusive_scan6__halfLj32ELj100EEvPKT0_PS2_S2_
		.amdhsa_group_segment_fixed_size 0
		.amdhsa_private_segment_fixed_size 0
		.amdhsa_kernarg_size 280
		.amdhsa_user_sgpr_count 15
		.amdhsa_user_sgpr_dispatch_ptr 0
		.amdhsa_user_sgpr_queue_ptr 0
		.amdhsa_user_sgpr_kernarg_segment_ptr 1
		.amdhsa_user_sgpr_dispatch_id 0
		.amdhsa_user_sgpr_private_segment_size 0
		.amdhsa_wavefront_size32 1
		.amdhsa_uses_dynamic_stack 0
		.amdhsa_enable_private_segment 0
		.amdhsa_system_sgpr_workgroup_id_x 1
		.amdhsa_system_sgpr_workgroup_id_y 0
		.amdhsa_system_sgpr_workgroup_id_z 0
		.amdhsa_system_sgpr_workgroup_info 0
		.amdhsa_system_vgpr_workitem_id 0
		.amdhsa_next_free_vgpr 5
		.amdhsa_next_free_sgpr 16
		.amdhsa_reserve_vcc 1
		.amdhsa_float_round_mode_32 0
		.amdhsa_float_round_mode_16_64 0
		.amdhsa_float_denorm_mode_32 3
		.amdhsa_float_denorm_mode_16_64 3
		.amdhsa_dx10_clamp 1
		.amdhsa_ieee_mode 1
		.amdhsa_fp16_overflow 0
		.amdhsa_workgroup_processor_mode 1
		.amdhsa_memory_ordered 1
		.amdhsa_forward_progress 0
		.amdhsa_shared_vgpr_count 0
		.amdhsa_exception_fp_ieee_invalid_op 0
		.amdhsa_exception_fp_denorm_src 0
		.amdhsa_exception_fp_ieee_div_zero 0
		.amdhsa_exception_fp_ieee_overflow 0
		.amdhsa_exception_fp_ieee_underflow 0
		.amdhsa_exception_fp_ieee_inexact 0
		.amdhsa_exception_int_div_zero 0
	.end_amdhsa_kernel
	.section	.text._Z6kernelI14inclusive_scan6__halfLj32ELj100EEvPKT0_PS2_S2_,"axG",@progbits,_Z6kernelI14inclusive_scan6__halfLj32ELj100EEvPKT0_PS2_S2_,comdat
.Lfunc_end31:
	.size	_Z6kernelI14inclusive_scan6__halfLj32ELj100EEvPKT0_PS2_S2_, .Lfunc_end31-_Z6kernelI14inclusive_scan6__halfLj32ELj100EEvPKT0_PS2_S2_
                                        ; -- End function
	.section	.AMDGPU.csdata,"",@progbits
; Kernel info:
; codeLenInByte = 376
; NumSgprs: 18
; NumVgprs: 5
; ScratchSize: 0
; MemoryBound: 0
; FloatMode: 240
; IeeeMode: 1
; LDSByteSize: 0 bytes/workgroup (compile time only)
; SGPRBlocks: 2
; VGPRBlocks: 0
; NumSGPRsForWavesPerEU: 18
; NumVGPRsForWavesPerEU: 5
; Occupancy: 16
; WaveLimiterHint : 0
; COMPUTE_PGM_RSRC2:SCRATCH_EN: 0
; COMPUTE_PGM_RSRC2:USER_SGPR: 15
; COMPUTE_PGM_RSRC2:TRAP_HANDLER: 0
; COMPUTE_PGM_RSRC2:TGID_X_EN: 1
; COMPUTE_PGM_RSRC2:TGID_Y_EN: 0
; COMPUTE_PGM_RSRC2:TGID_Z_EN: 0
; COMPUTE_PGM_RSRC2:TIDIG_COMP_CNT: 0
	.section	.text._Z6kernelI14inclusive_scan6__halfLj16ELj100EEvPKT0_PS2_S2_,"axG",@progbits,_Z6kernelI14inclusive_scan6__halfLj16ELj100EEvPKT0_PS2_S2_,comdat
	.protected	_Z6kernelI14inclusive_scan6__halfLj16ELj100EEvPKT0_PS2_S2_ ; -- Begin function _Z6kernelI14inclusive_scan6__halfLj16ELj100EEvPKT0_PS2_S2_
	.globl	_Z6kernelI14inclusive_scan6__halfLj16ELj100EEvPKT0_PS2_S2_
	.p2align	8
	.type	_Z6kernelI14inclusive_scan6__halfLj16ELj100EEvPKT0_PS2_S2_,@function
_Z6kernelI14inclusive_scan6__halfLj16ELj100EEvPKT0_PS2_S2_: ; @_Z6kernelI14inclusive_scan6__halfLj16ELj100EEvPKT0_PS2_S2_
; %bb.0:
	s_clause 0x1
	s_load_b32 s2, s[0:1], 0x24
	s_load_b128 s[4:7], s[0:1], 0x0
	s_movk_i32 s3, 0x64
	s_waitcnt lgkmcnt(0)
	s_and_b32 s0, s2, 0xffff
	s_delay_alu instid0(SALU_CYCLE_1) | instskip(SKIP_1) | instid1(VALU_DEP_1)
	v_mad_u64_u32 v[1:2], null, s15, s0, v[0:1]
	v_mov_b32_e32 v2, 0
	v_lshlrev_b64 v[0:1], 1, v[1:2]
	s_delay_alu instid0(VALU_DEP_1) | instskip(NEXT) | instid1(VALU_DEP_2)
	v_add_co_u32 v2, vcc_lo, s4, v0
	v_add_co_ci_u32_e32 v3, vcc_lo, s5, v1, vcc_lo
	global_load_u16 v2, v[2:3], off
	v_mbcnt_lo_u32_b32 v3, -1, 0
	s_delay_alu instid0(VALU_DEP_1) | instskip(NEXT) | instid1(VALU_DEP_1)
	v_and_b32_e32 v3, 15, v3
	v_cmp_eq_u32_e32 vcc_lo, 0, v3
	v_cmp_lt_u32_e64 s0, 1, v3
	v_cmp_lt_u32_e64 s1, 3, v3
	;; [unrolled: 1-line block ×3, first 2 shown]
	.p2align	6
.LBB32_1:                               ; =>This Inner Loop Header: Depth=1
	s_waitcnt vmcnt(0)
	s_delay_alu instid0(VALU_DEP_1) | instskip(SKIP_1) | instid1(SALU_CYCLE_1)
	v_and_b32_e32 v3, 0xffff, v2
	s_add_i32 s3, s3, -1
	s_cmp_lg_u32 s3, 0
	s_delay_alu instid0(VALU_DEP_1) | instskip(NEXT) | instid1(VALU_DEP_1)
	v_mov_b32_dpp v3, v3 row_shr:1 row_mask:0xf bank_mask:0xf
	v_add_f16_e32 v3, v2, v3
	s_delay_alu instid0(VALU_DEP_1) | instskip(NEXT) | instid1(VALU_DEP_1)
	v_cndmask_b32_e32 v2, v3, v2, vcc_lo
	v_and_b32_e32 v3, 0xffff, v2
	s_delay_alu instid0(VALU_DEP_1) | instskip(NEXT) | instid1(VALU_DEP_1)
	v_mov_b32_dpp v3, v3 row_shr:2 row_mask:0xf bank_mask:0xf
	v_add_f16_e32 v3, v2, v3
	s_delay_alu instid0(VALU_DEP_1) | instskip(NEXT) | instid1(VALU_DEP_1)
	v_cndmask_b32_e64 v2, v2, v3, s0
	v_and_b32_e32 v3, 0xffff, v2
	s_delay_alu instid0(VALU_DEP_1) | instskip(NEXT) | instid1(VALU_DEP_1)
	v_mov_b32_dpp v3, v3 row_shr:4 row_mask:0xf bank_mask:0xf
	v_add_f16_e32 v3, v2, v3
	s_delay_alu instid0(VALU_DEP_1) | instskip(NEXT) | instid1(VALU_DEP_1)
	v_cndmask_b32_e64 v2, v2, v3, s1
	v_and_b32_e32 v3, 0xffff, v2
	s_delay_alu instid0(VALU_DEP_1) | instskip(NEXT) | instid1(VALU_DEP_1)
	v_mov_b32_dpp v3, v3 row_shr:8 row_mask:0xf bank_mask:0xf
	v_add_f16_e32 v3, v2, v3
	s_delay_alu instid0(VALU_DEP_1)
	v_cndmask_b32_e64 v2, v2, v3, s2
	s_cbranch_scc1 .LBB32_1
; %bb.2:
	v_add_co_u32 v0, vcc_lo, s6, v0
	v_add_co_ci_u32_e32 v1, vcc_lo, s7, v1, vcc_lo
	global_store_b16 v[0:1], v2, off
	s_nop 0
	s_sendmsg sendmsg(MSG_DEALLOC_VGPRS)
	s_endpgm
	.section	.rodata,"a",@progbits
	.p2align	6, 0x0
	.amdhsa_kernel _Z6kernelI14inclusive_scan6__halfLj16ELj100EEvPKT0_PS2_S2_
		.amdhsa_group_segment_fixed_size 0
		.amdhsa_private_segment_fixed_size 0
		.amdhsa_kernarg_size 280
		.amdhsa_user_sgpr_count 15
		.amdhsa_user_sgpr_dispatch_ptr 0
		.amdhsa_user_sgpr_queue_ptr 0
		.amdhsa_user_sgpr_kernarg_segment_ptr 1
		.amdhsa_user_sgpr_dispatch_id 0
		.amdhsa_user_sgpr_private_segment_size 0
		.amdhsa_wavefront_size32 1
		.amdhsa_uses_dynamic_stack 0
		.amdhsa_enable_private_segment 0
		.amdhsa_system_sgpr_workgroup_id_x 1
		.amdhsa_system_sgpr_workgroup_id_y 0
		.amdhsa_system_sgpr_workgroup_id_z 0
		.amdhsa_system_sgpr_workgroup_info 0
		.amdhsa_system_vgpr_workitem_id 0
		.amdhsa_next_free_vgpr 4
		.amdhsa_next_free_sgpr 16
		.amdhsa_reserve_vcc 1
		.amdhsa_float_round_mode_32 0
		.amdhsa_float_round_mode_16_64 0
		.amdhsa_float_denorm_mode_32 3
		.amdhsa_float_denorm_mode_16_64 3
		.amdhsa_dx10_clamp 1
		.amdhsa_ieee_mode 1
		.amdhsa_fp16_overflow 0
		.amdhsa_workgroup_processor_mode 1
		.amdhsa_memory_ordered 1
		.amdhsa_forward_progress 0
		.amdhsa_shared_vgpr_count 0
		.amdhsa_exception_fp_ieee_invalid_op 0
		.amdhsa_exception_fp_denorm_src 0
		.amdhsa_exception_fp_ieee_div_zero 0
		.amdhsa_exception_fp_ieee_overflow 0
		.amdhsa_exception_fp_ieee_underflow 0
		.amdhsa_exception_fp_ieee_inexact 0
		.amdhsa_exception_int_div_zero 0
	.end_amdhsa_kernel
	.section	.text._Z6kernelI14inclusive_scan6__halfLj16ELj100EEvPKT0_PS2_S2_,"axG",@progbits,_Z6kernelI14inclusive_scan6__halfLj16ELj100EEvPKT0_PS2_S2_,comdat
.Lfunc_end32:
	.size	_Z6kernelI14inclusive_scan6__halfLj16ELj100EEvPKT0_PS2_S2_, .Lfunc_end32-_Z6kernelI14inclusive_scan6__halfLj16ELj100EEvPKT0_PS2_S2_
                                        ; -- End function
	.section	.AMDGPU.csdata,"",@progbits
; Kernel info:
; codeLenInByte = 320
; NumSgprs: 18
; NumVgprs: 4
; ScratchSize: 0
; MemoryBound: 0
; FloatMode: 240
; IeeeMode: 1
; LDSByteSize: 0 bytes/workgroup (compile time only)
; SGPRBlocks: 2
; VGPRBlocks: 0
; NumSGPRsForWavesPerEU: 18
; NumVGPRsForWavesPerEU: 4
; Occupancy: 16
; WaveLimiterHint : 0
; COMPUTE_PGM_RSRC2:SCRATCH_EN: 0
; COMPUTE_PGM_RSRC2:USER_SGPR: 15
; COMPUTE_PGM_RSRC2:TRAP_HANDLER: 0
; COMPUTE_PGM_RSRC2:TGID_X_EN: 1
; COMPUTE_PGM_RSRC2:TGID_Y_EN: 0
; COMPUTE_PGM_RSRC2:TGID_Z_EN: 0
; COMPUTE_PGM_RSRC2:TIDIG_COMP_CNT: 0
	.section	.text._Z6kernelI14inclusive_scan6__halfLj63ELj100EEvPKT0_PS2_S2_,"axG",@progbits,_Z6kernelI14inclusive_scan6__halfLj63ELj100EEvPKT0_PS2_S2_,comdat
	.protected	_Z6kernelI14inclusive_scan6__halfLj63ELj100EEvPKT0_PS2_S2_ ; -- Begin function _Z6kernelI14inclusive_scan6__halfLj63ELj100EEvPKT0_PS2_S2_
	.globl	_Z6kernelI14inclusive_scan6__halfLj63ELj100EEvPKT0_PS2_S2_
	.p2align	8
	.type	_Z6kernelI14inclusive_scan6__halfLj63ELj100EEvPKT0_PS2_S2_,@function
_Z6kernelI14inclusive_scan6__halfLj63ELj100EEvPKT0_PS2_S2_: ; @_Z6kernelI14inclusive_scan6__halfLj63ELj100EEvPKT0_PS2_S2_
; %bb.0:
	s_clause 0x1
	s_load_b32 s4, s[0:1], 0x24
	s_load_b128 s[0:3], s[0:1], 0x0
	s_waitcnt lgkmcnt(0)
	s_and_b32 s4, s4, 0xffff
	s_delay_alu instid0(SALU_CYCLE_1) | instskip(SKIP_1) | instid1(VALU_DEP_1)
	v_mad_u64_u32 v[1:2], null, s15, s4, v[0:1]
	v_mov_b32_e32 v2, 0
	v_lshlrev_b64 v[0:1], 1, v[1:2]
	s_delay_alu instid0(VALU_DEP_1) | instskip(NEXT) | instid1(VALU_DEP_2)
	v_add_co_u32 v2, vcc_lo, s0, v0
	v_add_co_ci_u32_e32 v3, vcc_lo, s1, v1, vcc_lo
	v_add_co_u32 v0, vcc_lo, s2, v0
	v_add_co_ci_u32_e32 v1, vcc_lo, s3, v1, vcc_lo
	global_load_u16 v2, v[2:3], off
	s_waitcnt vmcnt(0)
	global_store_b16 v[0:1], v2, off
	s_nop 0
	s_sendmsg sendmsg(MSG_DEALLOC_VGPRS)
	s_endpgm
	.section	.rodata,"a",@progbits
	.p2align	6, 0x0
	.amdhsa_kernel _Z6kernelI14inclusive_scan6__halfLj63ELj100EEvPKT0_PS2_S2_
		.amdhsa_group_segment_fixed_size 0
		.amdhsa_private_segment_fixed_size 0
		.amdhsa_kernarg_size 280
		.amdhsa_user_sgpr_count 15
		.amdhsa_user_sgpr_dispatch_ptr 0
		.amdhsa_user_sgpr_queue_ptr 0
		.amdhsa_user_sgpr_kernarg_segment_ptr 1
		.amdhsa_user_sgpr_dispatch_id 0
		.amdhsa_user_sgpr_private_segment_size 0
		.amdhsa_wavefront_size32 1
		.amdhsa_uses_dynamic_stack 0
		.amdhsa_enable_private_segment 0
		.amdhsa_system_sgpr_workgroup_id_x 1
		.amdhsa_system_sgpr_workgroup_id_y 0
		.amdhsa_system_sgpr_workgroup_id_z 0
		.amdhsa_system_sgpr_workgroup_info 0
		.amdhsa_system_vgpr_workitem_id 0
		.amdhsa_next_free_vgpr 4
		.amdhsa_next_free_sgpr 16
		.amdhsa_reserve_vcc 1
		.amdhsa_float_round_mode_32 0
		.amdhsa_float_round_mode_16_64 0
		.amdhsa_float_denorm_mode_32 3
		.amdhsa_float_denorm_mode_16_64 3
		.amdhsa_dx10_clamp 1
		.amdhsa_ieee_mode 1
		.amdhsa_fp16_overflow 0
		.amdhsa_workgroup_processor_mode 1
		.amdhsa_memory_ordered 1
		.amdhsa_forward_progress 0
		.amdhsa_shared_vgpr_count 0
		.amdhsa_exception_fp_ieee_invalid_op 0
		.amdhsa_exception_fp_denorm_src 0
		.amdhsa_exception_fp_ieee_div_zero 0
		.amdhsa_exception_fp_ieee_overflow 0
		.amdhsa_exception_fp_ieee_underflow 0
		.amdhsa_exception_fp_ieee_inexact 0
		.amdhsa_exception_int_div_zero 0
	.end_amdhsa_kernel
	.section	.text._Z6kernelI14inclusive_scan6__halfLj63ELj100EEvPKT0_PS2_S2_,"axG",@progbits,_Z6kernelI14inclusive_scan6__halfLj63ELj100EEvPKT0_PS2_S2_,comdat
.Lfunc_end33:
	.size	_Z6kernelI14inclusive_scan6__halfLj63ELj100EEvPKT0_PS2_S2_, .Lfunc_end33-_Z6kernelI14inclusive_scan6__halfLj63ELj100EEvPKT0_PS2_S2_
                                        ; -- End function
	.section	.AMDGPU.csdata,"",@progbits
; Kernel info:
; codeLenInByte = 116
; NumSgprs: 18
; NumVgprs: 4
; ScratchSize: 0
; MemoryBound: 0
; FloatMode: 240
; IeeeMode: 1
; LDSByteSize: 0 bytes/workgroup (compile time only)
; SGPRBlocks: 2
; VGPRBlocks: 0
; NumSGPRsForWavesPerEU: 18
; NumVGPRsForWavesPerEU: 4
; Occupancy: 16
; WaveLimiterHint : 0
; COMPUTE_PGM_RSRC2:SCRATCH_EN: 0
; COMPUTE_PGM_RSRC2:USER_SGPR: 15
; COMPUTE_PGM_RSRC2:TRAP_HANDLER: 0
; COMPUTE_PGM_RSRC2:TGID_X_EN: 1
; COMPUTE_PGM_RSRC2:TGID_Y_EN: 0
; COMPUTE_PGM_RSRC2:TGID_Z_EN: 0
; COMPUTE_PGM_RSRC2:TIDIG_COMP_CNT: 0
	.section	.text._Z6kernelI14inclusive_scan6__halfLj31ELj100EEvPKT0_PS2_S2_,"axG",@progbits,_Z6kernelI14inclusive_scan6__halfLj31ELj100EEvPKT0_PS2_S2_,comdat
	.protected	_Z6kernelI14inclusive_scan6__halfLj31ELj100EEvPKT0_PS2_S2_ ; -- Begin function _Z6kernelI14inclusive_scan6__halfLj31ELj100EEvPKT0_PS2_S2_
	.globl	_Z6kernelI14inclusive_scan6__halfLj31ELj100EEvPKT0_PS2_S2_
	.p2align	8
	.type	_Z6kernelI14inclusive_scan6__halfLj31ELj100EEvPKT0_PS2_S2_,@function
_Z6kernelI14inclusive_scan6__halfLj31ELj100EEvPKT0_PS2_S2_: ; @_Z6kernelI14inclusive_scan6__halfLj31ELj100EEvPKT0_PS2_S2_
; %bb.0:
	s_clause 0x1
	s_load_b32 s2, s[0:1], 0x24
	s_load_b128 s[4:7], s[0:1], 0x0
	s_waitcnt lgkmcnt(0)
	s_and_b32 s0, s2, 0xffff
	s_delay_alu instid0(SALU_CYCLE_1) | instskip(SKIP_1) | instid1(VALU_DEP_1)
	v_mad_u64_u32 v[1:2], null, s15, s0, v[0:1]
	v_mov_b32_e32 v2, 0
	v_lshlrev_b64 v[0:1], 1, v[1:2]
	s_delay_alu instid0(VALU_DEP_1) | instskip(NEXT) | instid1(VALU_DEP_2)
	v_add_co_u32 v2, vcc_lo, s4, v0
	v_add_co_ci_u32_e32 v3, vcc_lo, s5, v1, vcc_lo
	s_movk_i32 s4, 0x64
	global_load_u16 v2, v[2:3], off
	v_mbcnt_lo_u32_b32 v3, -1, 0
	s_delay_alu instid0(VALU_DEP_1) | instskip(NEXT) | instid1(VALU_DEP_1)
	v_mul_hi_u32 v4, 0x8421085, v3
	v_mul_u32_u24_e32 v4, 31, v4
	s_delay_alu instid0(VALU_DEP_1) | instskip(NEXT) | instid1(VALU_DEP_1)
	v_sub_nc_u32_e32 v4, v3, v4
	v_lshlrev_b32_e32 v3, 1, v4
	v_cmp_ne_u32_e32 vcc_lo, 0, v4
	v_cmp_lt_u32_e64 s0, 1, v4
	v_cmp_lt_u32_e64 s1, 3, v4
	;; [unrolled: 1-line block ×4, first 2 shown]
	v_add_nc_u32_e32 v4, -2, v3
	v_add_nc_u32_e32 v5, -4, v3
	;; [unrolled: 1-line block ×4, first 2 shown]
	v_subrev_nc_u32_e32 v8, 32, v3
	s_branch .LBB34_2
.LBB34_1:                               ;   in Loop: Header=BB34_2 Depth=1
	s_or_b32 exec_lo, exec_lo, s5
	s_add_i32 s4, s4, -1
	s_delay_alu instid0(SALU_CYCLE_1)
	s_cmp_lg_u32 s4, 0
	; wave barrier
	s_cbranch_scc0 .LBB34_22
.LBB34_2:                               ; =>This Inner Loop Header: Depth=1
	s_waitcnt vmcnt(0)
	ds_store_b16 v3, v2
	; wave barrier
	s_and_saveexec_b32 s5, vcc_lo
	s_cbranch_execz .LBB34_4
; %bb.3:                                ;   in Loop: Header=BB34_2 Depth=1
	ds_load_u16 v9, v4
	s_waitcnt lgkmcnt(0)
	v_add_f16_e32 v2, v2, v9
.LBB34_4:                               ;   in Loop: Header=BB34_2 Depth=1
	s_or_b32 exec_lo, exec_lo, s5
	; wave barrier
	s_and_saveexec_b32 s5, vcc_lo
	s_cbranch_execz .LBB34_6
; %bb.5:                                ;   in Loop: Header=BB34_2 Depth=1
	ds_store_b16 v3, v2
.LBB34_6:                               ;   in Loop: Header=BB34_2 Depth=1
	s_or_b32 exec_lo, exec_lo, s5
	; wave barrier
	s_and_saveexec_b32 s5, s0
	s_cbranch_execz .LBB34_8
; %bb.7:                                ;   in Loop: Header=BB34_2 Depth=1
	ds_load_u16 v9, v5
	s_waitcnt lgkmcnt(0)
	v_add_f16_e32 v2, v2, v9
.LBB34_8:                               ;   in Loop: Header=BB34_2 Depth=1
	s_or_b32 exec_lo, exec_lo, s5
	; wave barrier
	s_and_saveexec_b32 s5, s0
	s_cbranch_execz .LBB34_10
; %bb.9:                                ;   in Loop: Header=BB34_2 Depth=1
	ds_store_b16 v3, v2
.LBB34_10:                              ;   in Loop: Header=BB34_2 Depth=1
	s_or_b32 exec_lo, exec_lo, s5
	; wave barrier
	s_and_saveexec_b32 s5, s1
	s_cbranch_execz .LBB34_12
; %bb.11:                               ;   in Loop: Header=BB34_2 Depth=1
	ds_load_u16 v9, v6
	s_waitcnt lgkmcnt(0)
	v_add_f16_e32 v2, v2, v9
.LBB34_12:                              ;   in Loop: Header=BB34_2 Depth=1
	s_or_b32 exec_lo, exec_lo, s5
	; wave barrier
	s_and_saveexec_b32 s5, s1
	s_cbranch_execz .LBB34_14
; %bb.13:                               ;   in Loop: Header=BB34_2 Depth=1
	ds_store_b16 v3, v2
.LBB34_14:                              ;   in Loop: Header=BB34_2 Depth=1
	s_or_b32 exec_lo, exec_lo, s5
	; wave barrier
	s_and_saveexec_b32 s5, s2
	s_cbranch_execz .LBB34_16
; %bb.15:                               ;   in Loop: Header=BB34_2 Depth=1
	ds_load_u16 v9, v7
	s_waitcnt lgkmcnt(0)
	v_add_f16_e32 v2, v2, v9
.LBB34_16:                              ;   in Loop: Header=BB34_2 Depth=1
	s_or_b32 exec_lo, exec_lo, s5
	; wave barrier
	s_and_saveexec_b32 s5, s2
	s_cbranch_execz .LBB34_18
; %bb.17:                               ;   in Loop: Header=BB34_2 Depth=1
	ds_store_b16 v3, v2
.LBB34_18:                              ;   in Loop: Header=BB34_2 Depth=1
	s_or_b32 exec_lo, exec_lo, s5
	; wave barrier
	s_and_saveexec_b32 s5, s3
	s_cbranch_execz .LBB34_20
; %bb.19:                               ;   in Loop: Header=BB34_2 Depth=1
	ds_load_u16 v9, v8
	s_waitcnt lgkmcnt(0)
	v_add_f16_e32 v2, v2, v9
.LBB34_20:                              ;   in Loop: Header=BB34_2 Depth=1
	s_or_b32 exec_lo, exec_lo, s5
	; wave barrier
	s_and_saveexec_b32 s5, s3
	s_cbranch_execz .LBB34_1
; %bb.21:                               ;   in Loop: Header=BB34_2 Depth=1
	ds_store_b16 v3, v2
	s_branch .LBB34_1
.LBB34_22:
	v_add_co_u32 v0, vcc_lo, s6, v0
	v_add_co_ci_u32_e32 v1, vcc_lo, s7, v1, vcc_lo
	global_store_b16 v[0:1], v2, off
	s_nop 0
	s_sendmsg sendmsg(MSG_DEALLOC_VGPRS)
	s_endpgm
	.section	.rodata,"a",@progbits
	.p2align	6, 0x0
	.amdhsa_kernel _Z6kernelI14inclusive_scan6__halfLj31ELj100EEvPKT0_PS2_S2_
		.amdhsa_group_segment_fixed_size 62
		.amdhsa_private_segment_fixed_size 0
		.amdhsa_kernarg_size 280
		.amdhsa_user_sgpr_count 15
		.amdhsa_user_sgpr_dispatch_ptr 0
		.amdhsa_user_sgpr_queue_ptr 0
		.amdhsa_user_sgpr_kernarg_segment_ptr 1
		.amdhsa_user_sgpr_dispatch_id 0
		.amdhsa_user_sgpr_private_segment_size 0
		.amdhsa_wavefront_size32 1
		.amdhsa_uses_dynamic_stack 0
		.amdhsa_enable_private_segment 0
		.amdhsa_system_sgpr_workgroup_id_x 1
		.amdhsa_system_sgpr_workgroup_id_y 0
		.amdhsa_system_sgpr_workgroup_id_z 0
		.amdhsa_system_sgpr_workgroup_info 0
		.amdhsa_system_vgpr_workitem_id 0
		.amdhsa_next_free_vgpr 10
		.amdhsa_next_free_sgpr 16
		.amdhsa_reserve_vcc 1
		.amdhsa_float_round_mode_32 0
		.amdhsa_float_round_mode_16_64 0
		.amdhsa_float_denorm_mode_32 3
		.amdhsa_float_denorm_mode_16_64 3
		.amdhsa_dx10_clamp 1
		.amdhsa_ieee_mode 1
		.amdhsa_fp16_overflow 0
		.amdhsa_workgroup_processor_mode 1
		.amdhsa_memory_ordered 1
		.amdhsa_forward_progress 0
		.amdhsa_shared_vgpr_count 0
		.amdhsa_exception_fp_ieee_invalid_op 0
		.amdhsa_exception_fp_denorm_src 0
		.amdhsa_exception_fp_ieee_div_zero 0
		.amdhsa_exception_fp_ieee_overflow 0
		.amdhsa_exception_fp_ieee_underflow 0
		.amdhsa_exception_fp_ieee_inexact 0
		.amdhsa_exception_int_div_zero 0
	.end_amdhsa_kernel
	.section	.text._Z6kernelI14inclusive_scan6__halfLj31ELj100EEvPKT0_PS2_S2_,"axG",@progbits,_Z6kernelI14inclusive_scan6__halfLj31ELj100EEvPKT0_PS2_S2_,comdat
.Lfunc_end34:
	.size	_Z6kernelI14inclusive_scan6__halfLj31ELj100EEvPKT0_PS2_S2_, .Lfunc_end34-_Z6kernelI14inclusive_scan6__halfLj31ELj100EEvPKT0_PS2_S2_
                                        ; -- End function
	.section	.AMDGPU.csdata,"",@progbits
; Kernel info:
; codeLenInByte = 488
; NumSgprs: 18
; NumVgprs: 10
; ScratchSize: 0
; MemoryBound: 0
; FloatMode: 240
; IeeeMode: 1
; LDSByteSize: 62 bytes/workgroup (compile time only)
; SGPRBlocks: 2
; VGPRBlocks: 1
; NumSGPRsForWavesPerEU: 18
; NumVGPRsForWavesPerEU: 10
; Occupancy: 16
; WaveLimiterHint : 0
; COMPUTE_PGM_RSRC2:SCRATCH_EN: 0
; COMPUTE_PGM_RSRC2:USER_SGPR: 15
; COMPUTE_PGM_RSRC2:TRAP_HANDLER: 0
; COMPUTE_PGM_RSRC2:TGID_X_EN: 1
; COMPUTE_PGM_RSRC2:TGID_Y_EN: 0
; COMPUTE_PGM_RSRC2:TGID_Z_EN: 0
; COMPUTE_PGM_RSRC2:TIDIG_COMP_CNT: 0
	.section	.text._Z6kernelI14inclusive_scan6__halfLj15ELj100EEvPKT0_PS2_S2_,"axG",@progbits,_Z6kernelI14inclusive_scan6__halfLj15ELj100EEvPKT0_PS2_S2_,comdat
	.protected	_Z6kernelI14inclusive_scan6__halfLj15ELj100EEvPKT0_PS2_S2_ ; -- Begin function _Z6kernelI14inclusive_scan6__halfLj15ELj100EEvPKT0_PS2_S2_
	.globl	_Z6kernelI14inclusive_scan6__halfLj15ELj100EEvPKT0_PS2_S2_
	.p2align	8
	.type	_Z6kernelI14inclusive_scan6__halfLj15ELj100EEvPKT0_PS2_S2_,@function
_Z6kernelI14inclusive_scan6__halfLj15ELj100EEvPKT0_PS2_S2_: ; @_Z6kernelI14inclusive_scan6__halfLj15ELj100EEvPKT0_PS2_S2_
; %bb.0:
	s_clause 0x1
	s_load_b32 s2, s[0:1], 0x24
	s_load_b128 s[4:7], s[0:1], 0x0
	s_movk_i32 s3, 0x64
	s_waitcnt lgkmcnt(0)
	s_and_b32 s0, s2, 0xffff
	s_delay_alu instid0(SALU_CYCLE_1) | instskip(SKIP_1) | instid1(VALU_DEP_1)
	v_mad_u64_u32 v[1:2], null, s15, s0, v[0:1]
	v_mov_b32_e32 v2, 0
	v_lshlrev_b64 v[0:1], 1, v[1:2]
	s_delay_alu instid0(VALU_DEP_1) | instskip(NEXT) | instid1(VALU_DEP_2)
	v_add_co_u32 v2, vcc_lo, s4, v0
	v_add_co_ci_u32_e32 v3, vcc_lo, s5, v1, vcc_lo
	global_load_u16 v2, v[2:3], off
	v_mbcnt_lo_u32_b32 v3, -1, 0
	s_delay_alu instid0(VALU_DEP_1) | instskip(NEXT) | instid1(VALU_DEP_1)
	v_mul_hi_u32 v4, 0x11111112, v3
	v_mul_u32_u24_e32 v4, 15, v4
	s_delay_alu instid0(VALU_DEP_1) | instskip(NEXT) | instid1(VALU_DEP_1)
	v_sub_nc_u32_e32 v4, v3, v4
	v_lshlrev_b32_e32 v3, 1, v4
	v_cmp_ne_u32_e32 vcc_lo, 0, v4
	v_cmp_lt_u32_e64 s0, 1, v4
	v_cmp_lt_u32_e64 s1, 3, v4
	;; [unrolled: 1-line block ×3, first 2 shown]
	v_add_nc_u32_e32 v4, -2, v3
	v_add_nc_u32_e32 v5, -4, v3
	;; [unrolled: 1-line block ×4, first 2 shown]
	s_branch .LBB35_2
.LBB35_1:                               ;   in Loop: Header=BB35_2 Depth=1
	s_or_b32 exec_lo, exec_lo, s4
	s_add_i32 s3, s3, -1
	s_delay_alu instid0(SALU_CYCLE_1)
	s_cmp_lg_u32 s3, 0
	; wave barrier
	s_cbranch_scc0 .LBB35_18
.LBB35_2:                               ; =>This Inner Loop Header: Depth=1
	s_waitcnt vmcnt(0)
	ds_store_b16 v3, v2
	; wave barrier
	s_and_saveexec_b32 s4, vcc_lo
	s_cbranch_execz .LBB35_4
; %bb.3:                                ;   in Loop: Header=BB35_2 Depth=1
	ds_load_u16 v8, v4
	s_waitcnt lgkmcnt(0)
	v_add_f16_e32 v2, v2, v8
.LBB35_4:                               ;   in Loop: Header=BB35_2 Depth=1
	s_or_b32 exec_lo, exec_lo, s4
	; wave barrier
	s_and_saveexec_b32 s4, vcc_lo
	s_cbranch_execz .LBB35_6
; %bb.5:                                ;   in Loop: Header=BB35_2 Depth=1
	ds_store_b16 v3, v2
.LBB35_6:                               ;   in Loop: Header=BB35_2 Depth=1
	s_or_b32 exec_lo, exec_lo, s4
	; wave barrier
	s_and_saveexec_b32 s4, s0
	s_cbranch_execz .LBB35_8
; %bb.7:                                ;   in Loop: Header=BB35_2 Depth=1
	ds_load_u16 v8, v5
	s_waitcnt lgkmcnt(0)
	v_add_f16_e32 v2, v2, v8
.LBB35_8:                               ;   in Loop: Header=BB35_2 Depth=1
	s_or_b32 exec_lo, exec_lo, s4
	; wave barrier
	s_and_saveexec_b32 s4, s0
	s_cbranch_execz .LBB35_10
; %bb.9:                                ;   in Loop: Header=BB35_2 Depth=1
	ds_store_b16 v3, v2
.LBB35_10:                              ;   in Loop: Header=BB35_2 Depth=1
	s_or_b32 exec_lo, exec_lo, s4
	; wave barrier
	s_and_saveexec_b32 s4, s1
	s_cbranch_execz .LBB35_12
; %bb.11:                               ;   in Loop: Header=BB35_2 Depth=1
	ds_load_u16 v8, v6
	s_waitcnt lgkmcnt(0)
	v_add_f16_e32 v2, v2, v8
.LBB35_12:                              ;   in Loop: Header=BB35_2 Depth=1
	s_or_b32 exec_lo, exec_lo, s4
	; wave barrier
	s_and_saveexec_b32 s4, s1
	s_cbranch_execz .LBB35_14
; %bb.13:                               ;   in Loop: Header=BB35_2 Depth=1
	ds_store_b16 v3, v2
.LBB35_14:                              ;   in Loop: Header=BB35_2 Depth=1
	s_or_b32 exec_lo, exec_lo, s4
	; wave barrier
	s_and_saveexec_b32 s4, s2
	s_cbranch_execz .LBB35_16
; %bb.15:                               ;   in Loop: Header=BB35_2 Depth=1
	ds_load_u16 v8, v7
	s_waitcnt lgkmcnt(0)
	v_add_f16_e32 v2, v2, v8
.LBB35_16:                              ;   in Loop: Header=BB35_2 Depth=1
	s_or_b32 exec_lo, exec_lo, s4
	; wave barrier
	s_and_saveexec_b32 s4, s2
	s_cbranch_execz .LBB35_1
; %bb.17:                               ;   in Loop: Header=BB35_2 Depth=1
	ds_store_b16 v3, v2
	s_branch .LBB35_1
.LBB35_18:
	v_add_co_u32 v0, vcc_lo, s6, v0
	v_add_co_ci_u32_e32 v1, vcc_lo, s7, v1, vcc_lo
	global_store_b16 v[0:1], v2, off
	s_nop 0
	s_sendmsg sendmsg(MSG_DEALLOC_VGPRS)
	s_endpgm
	.section	.rodata,"a",@progbits
	.p2align	6, 0x0
	.amdhsa_kernel _Z6kernelI14inclusive_scan6__halfLj15ELj100EEvPKT0_PS2_S2_
		.amdhsa_group_segment_fixed_size 30
		.amdhsa_private_segment_fixed_size 0
		.amdhsa_kernarg_size 280
		.amdhsa_user_sgpr_count 15
		.amdhsa_user_sgpr_dispatch_ptr 0
		.amdhsa_user_sgpr_queue_ptr 0
		.amdhsa_user_sgpr_kernarg_segment_ptr 1
		.amdhsa_user_sgpr_dispatch_id 0
		.amdhsa_user_sgpr_private_segment_size 0
		.amdhsa_wavefront_size32 1
		.amdhsa_uses_dynamic_stack 0
		.amdhsa_enable_private_segment 0
		.amdhsa_system_sgpr_workgroup_id_x 1
		.amdhsa_system_sgpr_workgroup_id_y 0
		.amdhsa_system_sgpr_workgroup_id_z 0
		.amdhsa_system_sgpr_workgroup_info 0
		.amdhsa_system_vgpr_workitem_id 0
		.amdhsa_next_free_vgpr 9
		.amdhsa_next_free_sgpr 16
		.amdhsa_reserve_vcc 1
		.amdhsa_float_round_mode_32 0
		.amdhsa_float_round_mode_16_64 0
		.amdhsa_float_denorm_mode_32 3
		.amdhsa_float_denorm_mode_16_64 3
		.amdhsa_dx10_clamp 1
		.amdhsa_ieee_mode 1
		.amdhsa_fp16_overflow 0
		.amdhsa_workgroup_processor_mode 1
		.amdhsa_memory_ordered 1
		.amdhsa_forward_progress 0
		.amdhsa_shared_vgpr_count 0
		.amdhsa_exception_fp_ieee_invalid_op 0
		.amdhsa_exception_fp_denorm_src 0
		.amdhsa_exception_fp_ieee_div_zero 0
		.amdhsa_exception_fp_ieee_overflow 0
		.amdhsa_exception_fp_ieee_underflow 0
		.amdhsa_exception_fp_ieee_inexact 0
		.amdhsa_exception_int_div_zero 0
	.end_amdhsa_kernel
	.section	.text._Z6kernelI14inclusive_scan6__halfLj15ELj100EEvPKT0_PS2_S2_,"axG",@progbits,_Z6kernelI14inclusive_scan6__halfLj15ELj100EEvPKT0_PS2_S2_,comdat
.Lfunc_end35:
	.size	_Z6kernelI14inclusive_scan6__halfLj15ELj100EEvPKT0_PS2_S2_, .Lfunc_end35-_Z6kernelI14inclusive_scan6__halfLj15ELj100EEvPKT0_PS2_S2_
                                        ; -- End function
	.section	.AMDGPU.csdata,"",@progbits
; Kernel info:
; codeLenInByte = 428
; NumSgprs: 18
; NumVgprs: 9
; ScratchSize: 0
; MemoryBound: 0
; FloatMode: 240
; IeeeMode: 1
; LDSByteSize: 30 bytes/workgroup (compile time only)
; SGPRBlocks: 2
; VGPRBlocks: 1
; NumSGPRsForWavesPerEU: 18
; NumVGPRsForWavesPerEU: 9
; Occupancy: 16
; WaveLimiterHint : 0
; COMPUTE_PGM_RSRC2:SCRATCH_EN: 0
; COMPUTE_PGM_RSRC2:USER_SGPR: 15
; COMPUTE_PGM_RSRC2:TRAP_HANDLER: 0
; COMPUTE_PGM_RSRC2:TGID_X_EN: 1
; COMPUTE_PGM_RSRC2:TGID_Y_EN: 0
; COMPUTE_PGM_RSRC2:TGID_Z_EN: 0
; COMPUTE_PGM_RSRC2:TIDIG_COMP_CNT: 0
	.section	.text._Z6kernelI14inclusive_scanN6common11custom_typeIddLb0EEELj64ELj100EEvPKT0_PS4_S4_,"axG",@progbits,_Z6kernelI14inclusive_scanN6common11custom_typeIddLb0EEELj64ELj100EEvPKT0_PS4_S4_,comdat
	.protected	_Z6kernelI14inclusive_scanN6common11custom_typeIddLb0EEELj64ELj100EEvPKT0_PS4_S4_ ; -- Begin function _Z6kernelI14inclusive_scanN6common11custom_typeIddLb0EEELj64ELj100EEvPKT0_PS4_S4_
	.globl	_Z6kernelI14inclusive_scanN6common11custom_typeIddLb0EEELj64ELj100EEvPKT0_PS4_S4_
	.p2align	8
	.type	_Z6kernelI14inclusive_scanN6common11custom_typeIddLb0EEELj64ELj100EEvPKT0_PS4_S4_,@function
_Z6kernelI14inclusive_scanN6common11custom_typeIddLb0EEELj64ELj100EEvPKT0_PS4_S4_: ; @_Z6kernelI14inclusive_scanN6common11custom_typeIddLb0EEELj64ELj100EEvPKT0_PS4_S4_
; %bb.0:
	s_clause 0x1
	s_load_b32 s4, s[0:1], 0x2c
	s_load_b128 s[0:3], s[0:1], 0x0
	s_waitcnt lgkmcnt(0)
	s_and_b32 s4, s4, 0xffff
	s_delay_alu instid0(SALU_CYCLE_1) | instskip(SKIP_1) | instid1(VALU_DEP_1)
	v_mad_u64_u32 v[1:2], null, s15, s4, v[0:1]
	v_mov_b32_e32 v2, 0
	v_lshlrev_b64 v[4:5], 4, v[1:2]
	s_delay_alu instid0(VALU_DEP_1) | instskip(NEXT) | instid1(VALU_DEP_2)
	v_add_co_u32 v0, vcc_lo, s0, v4
	v_add_co_ci_u32_e32 v1, vcc_lo, s1, v5, vcc_lo
	v_add_co_u32 v4, vcc_lo, s2, v4
	v_add_co_ci_u32_e32 v5, vcc_lo, s3, v5, vcc_lo
	global_load_b128 v[0:3], v[0:1], off
	s_waitcnt vmcnt(0)
	global_store_b128 v[4:5], v[0:3], off
	s_nop 0
	s_sendmsg sendmsg(MSG_DEALLOC_VGPRS)
	s_endpgm
	.section	.rodata,"a",@progbits
	.p2align	6, 0x0
	.amdhsa_kernel _Z6kernelI14inclusive_scanN6common11custom_typeIddLb0EEELj64ELj100EEvPKT0_PS4_S4_
		.amdhsa_group_segment_fixed_size 0
		.amdhsa_private_segment_fixed_size 0
		.amdhsa_kernarg_size 288
		.amdhsa_user_sgpr_count 15
		.amdhsa_user_sgpr_dispatch_ptr 0
		.amdhsa_user_sgpr_queue_ptr 0
		.amdhsa_user_sgpr_kernarg_segment_ptr 1
		.amdhsa_user_sgpr_dispatch_id 0
		.amdhsa_user_sgpr_private_segment_size 0
		.amdhsa_wavefront_size32 1
		.amdhsa_uses_dynamic_stack 0
		.amdhsa_enable_private_segment 0
		.amdhsa_system_sgpr_workgroup_id_x 1
		.amdhsa_system_sgpr_workgroup_id_y 0
		.amdhsa_system_sgpr_workgroup_id_z 0
		.amdhsa_system_sgpr_workgroup_info 0
		.amdhsa_system_vgpr_workitem_id 0
		.amdhsa_next_free_vgpr 6
		.amdhsa_next_free_sgpr 16
		.amdhsa_reserve_vcc 1
		.amdhsa_float_round_mode_32 0
		.amdhsa_float_round_mode_16_64 0
		.amdhsa_float_denorm_mode_32 3
		.amdhsa_float_denorm_mode_16_64 3
		.amdhsa_dx10_clamp 1
		.amdhsa_ieee_mode 1
		.amdhsa_fp16_overflow 0
		.amdhsa_workgroup_processor_mode 1
		.amdhsa_memory_ordered 1
		.amdhsa_forward_progress 0
		.amdhsa_shared_vgpr_count 0
		.amdhsa_exception_fp_ieee_invalid_op 0
		.amdhsa_exception_fp_denorm_src 0
		.amdhsa_exception_fp_ieee_div_zero 0
		.amdhsa_exception_fp_ieee_overflow 0
		.amdhsa_exception_fp_ieee_underflow 0
		.amdhsa_exception_fp_ieee_inexact 0
		.amdhsa_exception_int_div_zero 0
	.end_amdhsa_kernel
	.section	.text._Z6kernelI14inclusive_scanN6common11custom_typeIddLb0EEELj64ELj100EEvPKT0_PS4_S4_,"axG",@progbits,_Z6kernelI14inclusive_scanN6common11custom_typeIddLb0EEELj64ELj100EEvPKT0_PS4_S4_,comdat
.Lfunc_end36:
	.size	_Z6kernelI14inclusive_scanN6common11custom_typeIddLb0EEELj64ELj100EEvPKT0_PS4_S4_, .Lfunc_end36-_Z6kernelI14inclusive_scanN6common11custom_typeIddLb0EEELj64ELj100EEvPKT0_PS4_S4_
                                        ; -- End function
	.section	.AMDGPU.csdata,"",@progbits
; Kernel info:
; codeLenInByte = 116
; NumSgprs: 18
; NumVgprs: 6
; ScratchSize: 0
; MemoryBound: 0
; FloatMode: 240
; IeeeMode: 1
; LDSByteSize: 0 bytes/workgroup (compile time only)
; SGPRBlocks: 2
; VGPRBlocks: 0
; NumSGPRsForWavesPerEU: 18
; NumVGPRsForWavesPerEU: 6
; Occupancy: 16
; WaveLimiterHint : 0
; COMPUTE_PGM_RSRC2:SCRATCH_EN: 0
; COMPUTE_PGM_RSRC2:USER_SGPR: 15
; COMPUTE_PGM_RSRC2:TRAP_HANDLER: 0
; COMPUTE_PGM_RSRC2:TGID_X_EN: 1
; COMPUTE_PGM_RSRC2:TGID_Y_EN: 0
; COMPUTE_PGM_RSRC2:TGID_Z_EN: 0
; COMPUTE_PGM_RSRC2:TIDIG_COMP_CNT: 0
	.section	.text._Z6kernelI14inclusive_scanN6common11custom_typeIddLb0EEELj32ELj100EEvPKT0_PS4_S4_,"axG",@progbits,_Z6kernelI14inclusive_scanN6common11custom_typeIddLb0EEELj32ELj100EEvPKT0_PS4_S4_,comdat
	.protected	_Z6kernelI14inclusive_scanN6common11custom_typeIddLb0EEELj32ELj100EEvPKT0_PS4_S4_ ; -- Begin function _Z6kernelI14inclusive_scanN6common11custom_typeIddLb0EEELj32ELj100EEvPKT0_PS4_S4_
	.globl	_Z6kernelI14inclusive_scanN6common11custom_typeIddLb0EEELj32ELj100EEvPKT0_PS4_S4_
	.p2align	8
	.type	_Z6kernelI14inclusive_scanN6common11custom_typeIddLb0EEELj32ELj100EEvPKT0_PS4_S4_,@function
_Z6kernelI14inclusive_scanN6common11custom_typeIddLb0EEELj32ELj100EEvPKT0_PS4_S4_: ; @_Z6kernelI14inclusive_scanN6common11custom_typeIddLb0EEELj32ELj100EEvPKT0_PS4_S4_
; %bb.0:
	s_clause 0x1
	s_load_b32 s2, s[0:1], 0x2c
	s_load_b128 s[4:7], s[0:1], 0x0
	v_mbcnt_lo_u32_b32 v6, -1, 0
	s_delay_alu instid0(VALU_DEP_1) | instskip(SKIP_1) | instid1(VALU_DEP_2)
	v_and_b32_e32 v7, 15, v6
	v_and_b32_e32 v6, 16, v6
	v_cmp_lt_u32_e64 s1, 3, v7
	s_delay_alu instid0(VALU_DEP_2)
	v_cmp_ne_u32_e64 s3, 0, v6
	s_waitcnt lgkmcnt(0)
	s_and_b32 s0, s2, 0xffff
	v_cmp_lt_u32_e64 s2, 7, v7
	v_mad_u64_u32 v[1:2], null, s15, s0, v[0:1]
	v_mov_b32_e32 v2, 0
	v_cmp_lt_u32_e64 s0, 1, v7
	s_delay_alu instid0(VALU_DEP_2) | instskip(NEXT) | instid1(VALU_DEP_1)
	v_lshlrev_b64 v[4:5], 4, v[1:2]
	v_add_co_u32 v0, vcc_lo, s4, v4
	s_delay_alu instid0(VALU_DEP_2)
	v_add_co_ci_u32_e32 v1, vcc_lo, s5, v5, vcc_lo
	v_cmp_ne_u32_e32 vcc_lo, 0, v7
	s_movk_i32 s4, 0x64
	global_load_b128 v[0:3], v[0:1], off
	s_branch .LBB37_2
.LBB37_1:                               ;   in Loop: Header=BB37_2 Depth=1
	s_or_b32 exec_lo, exec_lo, s5
	s_add_i32 s4, s4, -1
	s_delay_alu instid0(SALU_CYCLE_1)
	s_cmp_lg_u32 s4, 0
	s_cbranch_scc0 .LBB37_12
.LBB37_2:                               ; =>This Inner Loop Header: Depth=1
	s_waitcnt vmcnt(0) lgkmcnt(3)
	s_delay_alu instid0(VALU_DEP_1) | instskip(SKIP_1) | instid1(VALU_DEP_2)
	v_mov_b32_dpp v6, v0 row_shr:1 row_mask:0xf bank_mask:0xf
	s_waitcnt lgkmcnt(2)
	v_mov_b32_dpp v7, v1 row_shr:1 row_mask:0xf bank_mask:0xf
	s_waitcnt lgkmcnt(1)
	s_delay_alu instid0(VALU_DEP_4)
	v_mov_b32_dpp v8, v2 row_shr:1 row_mask:0xf bank_mask:0xf
	s_waitcnt lgkmcnt(0)
	v_mov_b32_dpp v9, v3 row_shr:1 row_mask:0xf bank_mask:0xf
	s_and_saveexec_b32 s5, vcc_lo
; %bb.3:                                ;   in Loop: Header=BB37_2 Depth=1
	s_delay_alu instid0(VALU_DEP_1)
	v_add_f64 v[2:3], v[2:3], v[8:9]
	v_add_f64 v[0:1], v[0:1], v[6:7]
; %bb.4:                                ;   in Loop: Header=BB37_2 Depth=1
	s_or_b32 exec_lo, exec_lo, s5
	s_delay_alu instid0(VALU_DEP_1) | instskip(NEXT) | instid1(VALU_DEP_2)
	v_mov_b32_dpp v6, v0 row_shr:2 row_mask:0xf bank_mask:0xf
	v_mov_b32_dpp v7, v1 row_shr:2 row_mask:0xf bank_mask:0xf
	s_delay_alu instid0(VALU_DEP_4)
	v_mov_b32_dpp v8, v2 row_shr:2 row_mask:0xf bank_mask:0xf
	v_mov_b32_dpp v9, v3 row_shr:2 row_mask:0xf bank_mask:0xf
	s_and_saveexec_b32 s5, s0
; %bb.5:                                ;   in Loop: Header=BB37_2 Depth=1
	s_delay_alu instid0(VALU_DEP_1)
	v_add_f64 v[2:3], v[2:3], v[8:9]
	v_add_f64 v[0:1], v[0:1], v[6:7]
; %bb.6:                                ;   in Loop: Header=BB37_2 Depth=1
	s_or_b32 exec_lo, exec_lo, s5
	s_delay_alu instid0(VALU_DEP_1) | instskip(NEXT) | instid1(VALU_DEP_2)
	v_mov_b32_dpp v6, v0 row_shr:4 row_mask:0xf bank_mask:0xf
	v_mov_b32_dpp v7, v1 row_shr:4 row_mask:0xf bank_mask:0xf
	s_delay_alu instid0(VALU_DEP_4)
	v_mov_b32_dpp v8, v2 row_shr:4 row_mask:0xf bank_mask:0xf
	v_mov_b32_dpp v9, v3 row_shr:4 row_mask:0xf bank_mask:0xf
	s_and_saveexec_b32 s5, s1
	;; [unrolled: 13-line block ×3, first 2 shown]
; %bb.9:                                ;   in Loop: Header=BB37_2 Depth=1
	s_delay_alu instid0(VALU_DEP_1)
	v_add_f64 v[2:3], v[2:3], v[8:9]
	v_add_f64 v[0:1], v[0:1], v[6:7]
; %bb.10:                               ;   in Loop: Header=BB37_2 Depth=1
	s_or_b32 exec_lo, exec_lo, s5
	ds_swizzle_b32 v6, v0 offset:swizzle(BROADCAST,32,15)
	ds_swizzle_b32 v7, v1 offset:swizzle(BROADCAST,32,15)
	;; [unrolled: 1-line block ×4, first 2 shown]
	s_and_saveexec_b32 s5, s3
	s_cbranch_execz .LBB37_1
; %bb.11:                               ;   in Loop: Header=BB37_2 Depth=1
	s_waitcnt lgkmcnt(0)
	v_add_f64 v[2:3], v[2:3], v[8:9]
	v_add_f64 v[0:1], v[0:1], v[6:7]
	s_branch .LBB37_1
.LBB37_12:
	v_add_co_u32 v4, vcc_lo, s6, v4
	v_add_co_ci_u32_e32 v5, vcc_lo, s7, v5, vcc_lo
	global_store_b128 v[4:5], v[0:3], off
	s_nop 0
	s_sendmsg sendmsg(MSG_DEALLOC_VGPRS)
	s_endpgm
	.section	.rodata,"a",@progbits
	.p2align	6, 0x0
	.amdhsa_kernel _Z6kernelI14inclusive_scanN6common11custom_typeIddLb0EEELj32ELj100EEvPKT0_PS4_S4_
		.amdhsa_group_segment_fixed_size 0
		.amdhsa_private_segment_fixed_size 0
		.amdhsa_kernarg_size 288
		.amdhsa_user_sgpr_count 15
		.amdhsa_user_sgpr_dispatch_ptr 0
		.amdhsa_user_sgpr_queue_ptr 0
		.amdhsa_user_sgpr_kernarg_segment_ptr 1
		.amdhsa_user_sgpr_dispatch_id 0
		.amdhsa_user_sgpr_private_segment_size 0
		.amdhsa_wavefront_size32 1
		.amdhsa_uses_dynamic_stack 0
		.amdhsa_enable_private_segment 0
		.amdhsa_system_sgpr_workgroup_id_x 1
		.amdhsa_system_sgpr_workgroup_id_y 0
		.amdhsa_system_sgpr_workgroup_id_z 0
		.amdhsa_system_sgpr_workgroup_info 0
		.amdhsa_system_vgpr_workitem_id 0
		.amdhsa_next_free_vgpr 10
		.amdhsa_next_free_sgpr 16
		.amdhsa_reserve_vcc 1
		.amdhsa_float_round_mode_32 0
		.amdhsa_float_round_mode_16_64 0
		.amdhsa_float_denorm_mode_32 3
		.amdhsa_float_denorm_mode_16_64 3
		.amdhsa_dx10_clamp 1
		.amdhsa_ieee_mode 1
		.amdhsa_fp16_overflow 0
		.amdhsa_workgroup_processor_mode 1
		.amdhsa_memory_ordered 1
		.amdhsa_forward_progress 0
		.amdhsa_shared_vgpr_count 0
		.amdhsa_exception_fp_ieee_invalid_op 0
		.amdhsa_exception_fp_denorm_src 0
		.amdhsa_exception_fp_ieee_div_zero 0
		.amdhsa_exception_fp_ieee_overflow 0
		.amdhsa_exception_fp_ieee_underflow 0
		.amdhsa_exception_fp_ieee_inexact 0
		.amdhsa_exception_int_div_zero 0
	.end_amdhsa_kernel
	.section	.text._Z6kernelI14inclusive_scanN6common11custom_typeIddLb0EEELj32ELj100EEvPKT0_PS4_S4_,"axG",@progbits,_Z6kernelI14inclusive_scanN6common11custom_typeIddLb0EEELj32ELj100EEvPKT0_PS4_S4_,comdat
.Lfunc_end37:
	.size	_Z6kernelI14inclusive_scanN6common11custom_typeIddLb0EEELj32ELj100EEvPKT0_PS4_S4_, .Lfunc_end37-_Z6kernelI14inclusive_scanN6common11custom_typeIddLb0EEELj32ELj100EEvPKT0_PS4_S4_
                                        ; -- End function
	.section	.AMDGPU.csdata,"",@progbits
; Kernel info:
; codeLenInByte = 552
; NumSgprs: 18
; NumVgprs: 10
; ScratchSize: 0
; MemoryBound: 0
; FloatMode: 240
; IeeeMode: 1
; LDSByteSize: 0 bytes/workgroup (compile time only)
; SGPRBlocks: 2
; VGPRBlocks: 1
; NumSGPRsForWavesPerEU: 18
; NumVGPRsForWavesPerEU: 10
; Occupancy: 16
; WaveLimiterHint : 0
; COMPUTE_PGM_RSRC2:SCRATCH_EN: 0
; COMPUTE_PGM_RSRC2:USER_SGPR: 15
; COMPUTE_PGM_RSRC2:TRAP_HANDLER: 0
; COMPUTE_PGM_RSRC2:TGID_X_EN: 1
; COMPUTE_PGM_RSRC2:TGID_Y_EN: 0
; COMPUTE_PGM_RSRC2:TGID_Z_EN: 0
; COMPUTE_PGM_RSRC2:TIDIG_COMP_CNT: 0
	.section	.text._Z6kernelI14inclusive_scanN6common11custom_typeIddLb0EEELj16ELj100EEvPKT0_PS4_S4_,"axG",@progbits,_Z6kernelI14inclusive_scanN6common11custom_typeIddLb0EEELj16ELj100EEvPKT0_PS4_S4_,comdat
	.protected	_Z6kernelI14inclusive_scanN6common11custom_typeIddLb0EEELj16ELj100EEvPKT0_PS4_S4_ ; -- Begin function _Z6kernelI14inclusive_scanN6common11custom_typeIddLb0EEELj16ELj100EEvPKT0_PS4_S4_
	.globl	_Z6kernelI14inclusive_scanN6common11custom_typeIddLb0EEELj16ELj100EEvPKT0_PS4_S4_
	.p2align	8
	.type	_Z6kernelI14inclusive_scanN6common11custom_typeIddLb0EEELj16ELj100EEvPKT0_PS4_S4_,@function
_Z6kernelI14inclusive_scanN6common11custom_typeIddLb0EEELj16ELj100EEvPKT0_PS4_S4_: ; @_Z6kernelI14inclusive_scanN6common11custom_typeIddLb0EEELj16ELj100EEvPKT0_PS4_S4_
; %bb.0:
	s_clause 0x1
	s_load_b32 s2, s[0:1], 0x2c
	s_load_b128 s[4:7], s[0:1], 0x0
	v_mbcnt_lo_u32_b32 v6, -1, 0
	s_movk_i32 s3, 0x64
	s_delay_alu instid0(VALU_DEP_1) | instskip(NEXT) | instid1(VALU_DEP_1)
	v_and_b32_e32 v6, 15, v6
	v_cmp_lt_u32_e64 s1, 3, v6
	s_waitcnt lgkmcnt(0)
	s_and_b32 s0, s2, 0xffff
	v_cmp_lt_u32_e64 s2, 7, v6
	v_mad_u64_u32 v[1:2], null, s15, s0, v[0:1]
	v_mov_b32_e32 v2, 0
	v_cmp_lt_u32_e64 s0, 1, v6
	s_delay_alu instid0(VALU_DEP_2) | instskip(NEXT) | instid1(VALU_DEP_1)
	v_lshlrev_b64 v[4:5], 4, v[1:2]
	v_add_co_u32 v0, vcc_lo, s4, v4
	s_delay_alu instid0(VALU_DEP_2)
	v_add_co_ci_u32_e32 v1, vcc_lo, s5, v5, vcc_lo
	v_cmp_ne_u32_e32 vcc_lo, 0, v6
	global_load_b128 v[0:3], v[0:1], off
	s_branch .LBB38_2
.LBB38_1:                               ;   in Loop: Header=BB38_2 Depth=1
	s_or_b32 exec_lo, exec_lo, s4
	s_add_i32 s3, s3, -1
	s_delay_alu instid0(SALU_CYCLE_1)
	s_cmp_lg_u32 s3, 0
	s_cbranch_scc0 .LBB38_10
.LBB38_2:                               ; =>This Inner Loop Header: Depth=1
	s_waitcnt vmcnt(0)
	s_delay_alu instid0(VALU_DEP_1) | instskip(NEXT) | instid1(VALU_DEP_2)
	v_mov_b32_dpp v6, v0 row_shr:1 row_mask:0xf bank_mask:0xf
	v_mov_b32_dpp v7, v1 row_shr:1 row_mask:0xf bank_mask:0xf
	s_delay_alu instid0(VALU_DEP_4)
	v_mov_b32_dpp v8, v2 row_shr:1 row_mask:0xf bank_mask:0xf
	v_mov_b32_dpp v9, v3 row_shr:1 row_mask:0xf bank_mask:0xf
	s_and_saveexec_b32 s4, vcc_lo
; %bb.3:                                ;   in Loop: Header=BB38_2 Depth=1
	s_delay_alu instid0(VALU_DEP_1)
	v_add_f64 v[2:3], v[2:3], v[8:9]
	v_add_f64 v[0:1], v[0:1], v[6:7]
; %bb.4:                                ;   in Loop: Header=BB38_2 Depth=1
	s_or_b32 exec_lo, exec_lo, s4
	s_delay_alu instid0(VALU_DEP_1) | instskip(NEXT) | instid1(VALU_DEP_2)
	v_mov_b32_dpp v6, v0 row_shr:2 row_mask:0xf bank_mask:0xf
	v_mov_b32_dpp v7, v1 row_shr:2 row_mask:0xf bank_mask:0xf
	s_delay_alu instid0(VALU_DEP_4)
	v_mov_b32_dpp v8, v2 row_shr:2 row_mask:0xf bank_mask:0xf
	v_mov_b32_dpp v9, v3 row_shr:2 row_mask:0xf bank_mask:0xf
	s_and_saveexec_b32 s4, s0
; %bb.5:                                ;   in Loop: Header=BB38_2 Depth=1
	s_delay_alu instid0(VALU_DEP_1)
	v_add_f64 v[2:3], v[2:3], v[8:9]
	v_add_f64 v[0:1], v[0:1], v[6:7]
; %bb.6:                                ;   in Loop: Header=BB38_2 Depth=1
	s_or_b32 exec_lo, exec_lo, s4
	s_delay_alu instid0(VALU_DEP_1) | instskip(NEXT) | instid1(VALU_DEP_2)
	v_mov_b32_dpp v6, v0 row_shr:4 row_mask:0xf bank_mask:0xf
	v_mov_b32_dpp v7, v1 row_shr:4 row_mask:0xf bank_mask:0xf
	s_delay_alu instid0(VALU_DEP_4)
	v_mov_b32_dpp v8, v2 row_shr:4 row_mask:0xf bank_mask:0xf
	v_mov_b32_dpp v9, v3 row_shr:4 row_mask:0xf bank_mask:0xf
	s_and_saveexec_b32 s4, s1
	;; [unrolled: 13-line block ×3, first 2 shown]
	s_cbranch_execz .LBB38_1
; %bb.9:                                ;   in Loop: Header=BB38_2 Depth=1
	s_delay_alu instid0(VALU_DEP_1)
	v_add_f64 v[2:3], v[2:3], v[8:9]
	v_add_f64 v[0:1], v[0:1], v[6:7]
	s_branch .LBB38_1
.LBB38_10:
	v_add_co_u32 v4, vcc_lo, s6, v4
	v_add_co_ci_u32_e32 v5, vcc_lo, s7, v5, vcc_lo
	global_store_b128 v[4:5], v[0:3], off
	s_nop 0
	s_sendmsg sendmsg(MSG_DEALLOC_VGPRS)
	s_endpgm
	.section	.rodata,"a",@progbits
	.p2align	6, 0x0
	.amdhsa_kernel _Z6kernelI14inclusive_scanN6common11custom_typeIddLb0EEELj16ELj100EEvPKT0_PS4_S4_
		.amdhsa_group_segment_fixed_size 0
		.amdhsa_private_segment_fixed_size 0
		.amdhsa_kernarg_size 288
		.amdhsa_user_sgpr_count 15
		.amdhsa_user_sgpr_dispatch_ptr 0
		.amdhsa_user_sgpr_queue_ptr 0
		.amdhsa_user_sgpr_kernarg_segment_ptr 1
		.amdhsa_user_sgpr_dispatch_id 0
		.amdhsa_user_sgpr_private_segment_size 0
		.amdhsa_wavefront_size32 1
		.amdhsa_uses_dynamic_stack 0
		.amdhsa_enable_private_segment 0
		.amdhsa_system_sgpr_workgroup_id_x 1
		.amdhsa_system_sgpr_workgroup_id_y 0
		.amdhsa_system_sgpr_workgroup_id_z 0
		.amdhsa_system_sgpr_workgroup_info 0
		.amdhsa_system_vgpr_workitem_id 0
		.amdhsa_next_free_vgpr 10
		.amdhsa_next_free_sgpr 16
		.amdhsa_reserve_vcc 1
		.amdhsa_float_round_mode_32 0
		.amdhsa_float_round_mode_16_64 0
		.amdhsa_float_denorm_mode_32 3
		.amdhsa_float_denorm_mode_16_64 3
		.amdhsa_dx10_clamp 1
		.amdhsa_ieee_mode 1
		.amdhsa_fp16_overflow 0
		.amdhsa_workgroup_processor_mode 1
		.amdhsa_memory_ordered 1
		.amdhsa_forward_progress 0
		.amdhsa_shared_vgpr_count 0
		.amdhsa_exception_fp_ieee_invalid_op 0
		.amdhsa_exception_fp_denorm_src 0
		.amdhsa_exception_fp_ieee_div_zero 0
		.amdhsa_exception_fp_ieee_overflow 0
		.amdhsa_exception_fp_ieee_underflow 0
		.amdhsa_exception_fp_ieee_inexact 0
		.amdhsa_exception_int_div_zero 0
	.end_amdhsa_kernel
	.section	.text._Z6kernelI14inclusive_scanN6common11custom_typeIddLb0EEELj16ELj100EEvPKT0_PS4_S4_,"axG",@progbits,_Z6kernelI14inclusive_scanN6common11custom_typeIddLb0EEELj16ELj100EEvPKT0_PS4_S4_,comdat
.Lfunc_end38:
	.size	_Z6kernelI14inclusive_scanN6common11custom_typeIddLb0EEELj16ELj100EEvPKT0_PS4_S4_, .Lfunc_end38-_Z6kernelI14inclusive_scanN6common11custom_typeIddLb0EEELj16ELj100EEvPKT0_PS4_S4_
                                        ; -- End function
	.section	.AMDGPU.csdata,"",@progbits
; Kernel info:
; codeLenInByte = 464
; NumSgprs: 18
; NumVgprs: 10
; ScratchSize: 0
; MemoryBound: 0
; FloatMode: 240
; IeeeMode: 1
; LDSByteSize: 0 bytes/workgroup (compile time only)
; SGPRBlocks: 2
; VGPRBlocks: 1
; NumSGPRsForWavesPerEU: 18
; NumVGPRsForWavesPerEU: 10
; Occupancy: 16
; WaveLimiterHint : 0
; COMPUTE_PGM_RSRC2:SCRATCH_EN: 0
; COMPUTE_PGM_RSRC2:USER_SGPR: 15
; COMPUTE_PGM_RSRC2:TRAP_HANDLER: 0
; COMPUTE_PGM_RSRC2:TGID_X_EN: 1
; COMPUTE_PGM_RSRC2:TGID_Y_EN: 0
; COMPUTE_PGM_RSRC2:TGID_Z_EN: 0
; COMPUTE_PGM_RSRC2:TIDIG_COMP_CNT: 0
	.section	.text._Z6kernelI14inclusive_scanN6common11custom_typeIddLb0EEELj63ELj100EEvPKT0_PS4_S4_,"axG",@progbits,_Z6kernelI14inclusive_scanN6common11custom_typeIddLb0EEELj63ELj100EEvPKT0_PS4_S4_,comdat
	.protected	_Z6kernelI14inclusive_scanN6common11custom_typeIddLb0EEELj63ELj100EEvPKT0_PS4_S4_ ; -- Begin function _Z6kernelI14inclusive_scanN6common11custom_typeIddLb0EEELj63ELj100EEvPKT0_PS4_S4_
	.globl	_Z6kernelI14inclusive_scanN6common11custom_typeIddLb0EEELj63ELj100EEvPKT0_PS4_S4_
	.p2align	8
	.type	_Z6kernelI14inclusive_scanN6common11custom_typeIddLb0EEELj63ELj100EEvPKT0_PS4_S4_,@function
_Z6kernelI14inclusive_scanN6common11custom_typeIddLb0EEELj63ELj100EEvPKT0_PS4_S4_: ; @_Z6kernelI14inclusive_scanN6common11custom_typeIddLb0EEELj63ELj100EEvPKT0_PS4_S4_
; %bb.0:
	s_clause 0x1
	s_load_b32 s4, s[0:1], 0x2c
	s_load_b128 s[0:3], s[0:1], 0x0
	s_waitcnt lgkmcnt(0)
	s_and_b32 s4, s4, 0xffff
	s_delay_alu instid0(SALU_CYCLE_1) | instskip(SKIP_1) | instid1(VALU_DEP_1)
	v_mad_u64_u32 v[1:2], null, s15, s4, v[0:1]
	v_mov_b32_e32 v2, 0
	v_lshlrev_b64 v[4:5], 4, v[1:2]
	s_delay_alu instid0(VALU_DEP_1) | instskip(NEXT) | instid1(VALU_DEP_2)
	v_add_co_u32 v0, vcc_lo, s0, v4
	v_add_co_ci_u32_e32 v1, vcc_lo, s1, v5, vcc_lo
	v_add_co_u32 v4, vcc_lo, s2, v4
	v_add_co_ci_u32_e32 v5, vcc_lo, s3, v5, vcc_lo
	global_load_b128 v[0:3], v[0:1], off
	s_waitcnt vmcnt(0)
	global_store_b128 v[4:5], v[0:3], off
	s_nop 0
	s_sendmsg sendmsg(MSG_DEALLOC_VGPRS)
	s_endpgm
	.section	.rodata,"a",@progbits
	.p2align	6, 0x0
	.amdhsa_kernel _Z6kernelI14inclusive_scanN6common11custom_typeIddLb0EEELj63ELj100EEvPKT0_PS4_S4_
		.amdhsa_group_segment_fixed_size 0
		.amdhsa_private_segment_fixed_size 0
		.amdhsa_kernarg_size 288
		.amdhsa_user_sgpr_count 15
		.amdhsa_user_sgpr_dispatch_ptr 0
		.amdhsa_user_sgpr_queue_ptr 0
		.amdhsa_user_sgpr_kernarg_segment_ptr 1
		.amdhsa_user_sgpr_dispatch_id 0
		.amdhsa_user_sgpr_private_segment_size 0
		.amdhsa_wavefront_size32 1
		.amdhsa_uses_dynamic_stack 0
		.amdhsa_enable_private_segment 0
		.amdhsa_system_sgpr_workgroup_id_x 1
		.amdhsa_system_sgpr_workgroup_id_y 0
		.amdhsa_system_sgpr_workgroup_id_z 0
		.amdhsa_system_sgpr_workgroup_info 0
		.amdhsa_system_vgpr_workitem_id 0
		.amdhsa_next_free_vgpr 6
		.amdhsa_next_free_sgpr 16
		.amdhsa_reserve_vcc 1
		.amdhsa_float_round_mode_32 0
		.amdhsa_float_round_mode_16_64 0
		.amdhsa_float_denorm_mode_32 3
		.amdhsa_float_denorm_mode_16_64 3
		.amdhsa_dx10_clamp 1
		.amdhsa_ieee_mode 1
		.amdhsa_fp16_overflow 0
		.amdhsa_workgroup_processor_mode 1
		.amdhsa_memory_ordered 1
		.amdhsa_forward_progress 0
		.amdhsa_shared_vgpr_count 0
		.amdhsa_exception_fp_ieee_invalid_op 0
		.amdhsa_exception_fp_denorm_src 0
		.amdhsa_exception_fp_ieee_div_zero 0
		.amdhsa_exception_fp_ieee_overflow 0
		.amdhsa_exception_fp_ieee_underflow 0
		.amdhsa_exception_fp_ieee_inexact 0
		.amdhsa_exception_int_div_zero 0
	.end_amdhsa_kernel
	.section	.text._Z6kernelI14inclusive_scanN6common11custom_typeIddLb0EEELj63ELj100EEvPKT0_PS4_S4_,"axG",@progbits,_Z6kernelI14inclusive_scanN6common11custom_typeIddLb0EEELj63ELj100EEvPKT0_PS4_S4_,comdat
.Lfunc_end39:
	.size	_Z6kernelI14inclusive_scanN6common11custom_typeIddLb0EEELj63ELj100EEvPKT0_PS4_S4_, .Lfunc_end39-_Z6kernelI14inclusive_scanN6common11custom_typeIddLb0EEELj63ELj100EEvPKT0_PS4_S4_
                                        ; -- End function
	.section	.AMDGPU.csdata,"",@progbits
; Kernel info:
; codeLenInByte = 116
; NumSgprs: 18
; NumVgprs: 6
; ScratchSize: 0
; MemoryBound: 0
; FloatMode: 240
; IeeeMode: 1
; LDSByteSize: 0 bytes/workgroup (compile time only)
; SGPRBlocks: 2
; VGPRBlocks: 0
; NumSGPRsForWavesPerEU: 18
; NumVGPRsForWavesPerEU: 6
; Occupancy: 16
; WaveLimiterHint : 0
; COMPUTE_PGM_RSRC2:SCRATCH_EN: 0
; COMPUTE_PGM_RSRC2:USER_SGPR: 15
; COMPUTE_PGM_RSRC2:TRAP_HANDLER: 0
; COMPUTE_PGM_RSRC2:TGID_X_EN: 1
; COMPUTE_PGM_RSRC2:TGID_Y_EN: 0
; COMPUTE_PGM_RSRC2:TGID_Z_EN: 0
; COMPUTE_PGM_RSRC2:TIDIG_COMP_CNT: 0
	.section	.text._Z6kernelI14inclusive_scanN6common11custom_typeIddLb0EEELj31ELj100EEvPKT0_PS4_S4_,"axG",@progbits,_Z6kernelI14inclusive_scanN6common11custom_typeIddLb0EEELj31ELj100EEvPKT0_PS4_S4_,comdat
	.protected	_Z6kernelI14inclusive_scanN6common11custom_typeIddLb0EEELj31ELj100EEvPKT0_PS4_S4_ ; -- Begin function _Z6kernelI14inclusive_scanN6common11custom_typeIddLb0EEELj31ELj100EEvPKT0_PS4_S4_
	.globl	_Z6kernelI14inclusive_scanN6common11custom_typeIddLb0EEELj31ELj100EEvPKT0_PS4_S4_
	.p2align	8
	.type	_Z6kernelI14inclusive_scanN6common11custom_typeIddLb0EEELj31ELj100EEvPKT0_PS4_S4_,@function
_Z6kernelI14inclusive_scanN6common11custom_typeIddLb0EEELj31ELj100EEvPKT0_PS4_S4_: ; @_Z6kernelI14inclusive_scanN6common11custom_typeIddLb0EEELj31ELj100EEvPKT0_PS4_S4_
; %bb.0:
	s_clause 0x1
	s_load_b32 s2, s[0:1], 0x2c
	s_load_b128 s[4:7], s[0:1], 0x0
	v_mbcnt_lo_u32_b32 v6, -1, 0
	s_delay_alu instid0(VALU_DEP_1) | instskip(NEXT) | instid1(VALU_DEP_1)
	v_mul_hi_u32 v7, 0x8421085, v6
	v_mul_u32_u24_e32 v7, 31, v7
	s_delay_alu instid0(VALU_DEP_1) | instskip(SKIP_2) | instid1(SALU_CYCLE_1)
	v_sub_nc_u32_e32 v7, v6, v7
	s_waitcnt lgkmcnt(0)
	s_and_b32 s0, s2, 0xffff
	v_mad_u64_u32 v[1:2], null, s15, s0, v[0:1]
	s_delay_alu instid0(VALU_DEP_2)
	v_lshlrev_b32_e32 v6, 4, v7
	v_mov_b32_e32 v2, 0
	v_cmp_lt_u32_e64 s0, 1, v7
	v_cmp_lt_u32_e64 s1, 3, v7
	v_cmp_lt_u32_e64 s2, 7, v7
	v_cmp_lt_u32_e64 s3, 15, v7
	v_lshlrev_b64 v[4:5], 4, v[1:2]
	v_subrev_nc_u32_e32 v8, 32, v6
	v_subrev_nc_u32_e32 v9, 64, v6
	v_add_nc_u32_e32 v10, 0xffffff80, v6
	v_add_nc_u32_e32 v11, 0xffffff00, v6
	v_add_co_u32 v0, vcc_lo, s4, v4
	v_add_co_ci_u32_e32 v1, vcc_lo, s5, v5, vcc_lo
	v_cmp_ne_u32_e32 vcc_lo, 0, v7
	v_add_nc_u32_e32 v7, -16, v6
	s_movk_i32 s4, 0x64
	global_load_b128 v[0:3], v[0:1], off
	s_branch .LBB40_2
.LBB40_1:                               ;   in Loop: Header=BB40_2 Depth=1
	s_or_b32 exec_lo, exec_lo, s5
	s_add_i32 s4, s4, -1
	s_delay_alu instid0(SALU_CYCLE_1)
	s_cmp_lg_u32 s4, 0
	; wave barrier
	s_cbranch_scc0 .LBB40_22
.LBB40_2:                               ; =>This Inner Loop Header: Depth=1
	s_waitcnt vmcnt(0)
	ds_store_2addr_b64 v6, v[0:1], v[2:3] offset1:1
	; wave barrier
	s_and_saveexec_b32 s5, vcc_lo
	s_cbranch_execz .LBB40_4
; %bb.3:                                ;   in Loop: Header=BB40_2 Depth=1
	ds_load_2addr_b64 v[12:15], v7 offset1:1
	s_waitcnt lgkmcnt(0)
	v_add_f64 v[0:1], v[0:1], v[12:13]
	v_add_f64 v[2:3], v[2:3], v[14:15]
.LBB40_4:                               ;   in Loop: Header=BB40_2 Depth=1
	s_or_b32 exec_lo, exec_lo, s5
	; wave barrier
	s_and_saveexec_b32 s5, vcc_lo
	s_cbranch_execz .LBB40_6
; %bb.5:                                ;   in Loop: Header=BB40_2 Depth=1
	ds_store_2addr_b64 v6, v[0:1], v[2:3] offset1:1
.LBB40_6:                               ;   in Loop: Header=BB40_2 Depth=1
	s_or_b32 exec_lo, exec_lo, s5
	; wave barrier
	s_and_saveexec_b32 s5, s0
	s_cbranch_execz .LBB40_8
; %bb.7:                                ;   in Loop: Header=BB40_2 Depth=1
	ds_load_2addr_b64 v[12:15], v8 offset1:1
	s_waitcnt lgkmcnt(0)
	v_add_f64 v[0:1], v[0:1], v[12:13]
	v_add_f64 v[2:3], v[2:3], v[14:15]
.LBB40_8:                               ;   in Loop: Header=BB40_2 Depth=1
	s_or_b32 exec_lo, exec_lo, s5
	; wave barrier
	s_and_saveexec_b32 s5, s0
	s_cbranch_execz .LBB40_10
; %bb.9:                                ;   in Loop: Header=BB40_2 Depth=1
	ds_store_2addr_b64 v6, v[0:1], v[2:3] offset1:1
.LBB40_10:                              ;   in Loop: Header=BB40_2 Depth=1
	s_or_b32 exec_lo, exec_lo, s5
	; wave barrier
	s_and_saveexec_b32 s5, s1
	s_cbranch_execz .LBB40_12
; %bb.11:                               ;   in Loop: Header=BB40_2 Depth=1
	ds_load_2addr_b64 v[12:15], v9 offset1:1
	s_waitcnt lgkmcnt(0)
	v_add_f64 v[0:1], v[0:1], v[12:13]
	v_add_f64 v[2:3], v[2:3], v[14:15]
.LBB40_12:                              ;   in Loop: Header=BB40_2 Depth=1
	s_or_b32 exec_lo, exec_lo, s5
	; wave barrier
	s_and_saveexec_b32 s5, s1
	s_cbranch_execz .LBB40_14
; %bb.13:                               ;   in Loop: Header=BB40_2 Depth=1
	ds_store_2addr_b64 v6, v[0:1], v[2:3] offset1:1
.LBB40_14:                              ;   in Loop: Header=BB40_2 Depth=1
	s_or_b32 exec_lo, exec_lo, s5
	; wave barrier
	s_and_saveexec_b32 s5, s2
	s_cbranch_execz .LBB40_16
; %bb.15:                               ;   in Loop: Header=BB40_2 Depth=1
	ds_load_2addr_b64 v[12:15], v10 offset1:1
	s_waitcnt lgkmcnt(0)
	v_add_f64 v[0:1], v[0:1], v[12:13]
	v_add_f64 v[2:3], v[2:3], v[14:15]
.LBB40_16:                              ;   in Loop: Header=BB40_2 Depth=1
	s_or_b32 exec_lo, exec_lo, s5
	; wave barrier
	s_and_saveexec_b32 s5, s2
	s_cbranch_execz .LBB40_18
; %bb.17:                               ;   in Loop: Header=BB40_2 Depth=1
	ds_store_2addr_b64 v6, v[0:1], v[2:3] offset1:1
.LBB40_18:                              ;   in Loop: Header=BB40_2 Depth=1
	s_or_b32 exec_lo, exec_lo, s5
	; wave barrier
	s_and_saveexec_b32 s5, s3
	s_cbranch_execz .LBB40_20
; %bb.19:                               ;   in Loop: Header=BB40_2 Depth=1
	ds_load_2addr_b64 v[12:15], v11 offset1:1
	s_waitcnt lgkmcnt(0)
	v_add_f64 v[0:1], v[0:1], v[12:13]
	v_add_f64 v[2:3], v[2:3], v[14:15]
.LBB40_20:                              ;   in Loop: Header=BB40_2 Depth=1
	s_or_b32 exec_lo, exec_lo, s5
	; wave barrier
	s_and_saveexec_b32 s5, s3
	s_cbranch_execz .LBB40_1
; %bb.21:                               ;   in Loop: Header=BB40_2 Depth=1
	ds_store_2addr_b64 v6, v[0:1], v[2:3] offset1:1
	s_branch .LBB40_1
.LBB40_22:
	v_add_co_u32 v4, vcc_lo, s6, v4
	v_add_co_ci_u32_e32 v5, vcc_lo, s7, v5, vcc_lo
	global_store_b128 v[4:5], v[0:3], off
	s_nop 0
	s_sendmsg sendmsg(MSG_DEALLOC_VGPRS)
	s_endpgm
	.section	.rodata,"a",@progbits
	.p2align	6, 0x0
	.amdhsa_kernel _Z6kernelI14inclusive_scanN6common11custom_typeIddLb0EEELj31ELj100EEvPKT0_PS4_S4_
		.amdhsa_group_segment_fixed_size 496
		.amdhsa_private_segment_fixed_size 0
		.amdhsa_kernarg_size 288
		.amdhsa_user_sgpr_count 15
		.amdhsa_user_sgpr_dispatch_ptr 0
		.amdhsa_user_sgpr_queue_ptr 0
		.amdhsa_user_sgpr_kernarg_segment_ptr 1
		.amdhsa_user_sgpr_dispatch_id 0
		.amdhsa_user_sgpr_private_segment_size 0
		.amdhsa_wavefront_size32 1
		.amdhsa_uses_dynamic_stack 0
		.amdhsa_enable_private_segment 0
		.amdhsa_system_sgpr_workgroup_id_x 1
		.amdhsa_system_sgpr_workgroup_id_y 0
		.amdhsa_system_sgpr_workgroup_id_z 0
		.amdhsa_system_sgpr_workgroup_info 0
		.amdhsa_system_vgpr_workitem_id 0
		.amdhsa_next_free_vgpr 16
		.amdhsa_next_free_sgpr 16
		.amdhsa_reserve_vcc 1
		.amdhsa_float_round_mode_32 0
		.amdhsa_float_round_mode_16_64 0
		.amdhsa_float_denorm_mode_32 3
		.amdhsa_float_denorm_mode_16_64 3
		.amdhsa_dx10_clamp 1
		.amdhsa_ieee_mode 1
		.amdhsa_fp16_overflow 0
		.amdhsa_workgroup_processor_mode 1
		.amdhsa_memory_ordered 1
		.amdhsa_forward_progress 0
		.amdhsa_shared_vgpr_count 0
		.amdhsa_exception_fp_ieee_invalid_op 0
		.amdhsa_exception_fp_denorm_src 0
		.amdhsa_exception_fp_ieee_div_zero 0
		.amdhsa_exception_fp_ieee_overflow 0
		.amdhsa_exception_fp_ieee_underflow 0
		.amdhsa_exception_fp_ieee_inexact 0
		.amdhsa_exception_int_div_zero 0
	.end_amdhsa_kernel
	.section	.text._Z6kernelI14inclusive_scanN6common11custom_typeIddLb0EEELj31ELj100EEvPKT0_PS4_S4_,"axG",@progbits,_Z6kernelI14inclusive_scanN6common11custom_typeIddLb0EEELj31ELj100EEvPKT0_PS4_S4_,comdat
.Lfunc_end40:
	.size	_Z6kernelI14inclusive_scanN6common11custom_typeIddLb0EEELj31ELj100EEvPKT0_PS4_S4_, .Lfunc_end40-_Z6kernelI14inclusive_scanN6common11custom_typeIddLb0EEELj31ELj100EEvPKT0_PS4_S4_
                                        ; -- End function
	.section	.AMDGPU.csdata,"",@progbits
; Kernel info:
; codeLenInByte = 552
; NumSgprs: 18
; NumVgprs: 16
; ScratchSize: 0
; MemoryBound: 0
; FloatMode: 240
; IeeeMode: 1
; LDSByteSize: 496 bytes/workgroup (compile time only)
; SGPRBlocks: 2
; VGPRBlocks: 1
; NumSGPRsForWavesPerEU: 18
; NumVGPRsForWavesPerEU: 16
; Occupancy: 16
; WaveLimiterHint : 0
; COMPUTE_PGM_RSRC2:SCRATCH_EN: 0
; COMPUTE_PGM_RSRC2:USER_SGPR: 15
; COMPUTE_PGM_RSRC2:TRAP_HANDLER: 0
; COMPUTE_PGM_RSRC2:TGID_X_EN: 1
; COMPUTE_PGM_RSRC2:TGID_Y_EN: 0
; COMPUTE_PGM_RSRC2:TGID_Z_EN: 0
; COMPUTE_PGM_RSRC2:TIDIG_COMP_CNT: 0
	.section	.text._Z6kernelI14inclusive_scanN6common11custom_typeIddLb0EEELj15ELj100EEvPKT0_PS4_S4_,"axG",@progbits,_Z6kernelI14inclusive_scanN6common11custom_typeIddLb0EEELj15ELj100EEvPKT0_PS4_S4_,comdat
	.protected	_Z6kernelI14inclusive_scanN6common11custom_typeIddLb0EEELj15ELj100EEvPKT0_PS4_S4_ ; -- Begin function _Z6kernelI14inclusive_scanN6common11custom_typeIddLb0EEELj15ELj100EEvPKT0_PS4_S4_
	.globl	_Z6kernelI14inclusive_scanN6common11custom_typeIddLb0EEELj15ELj100EEvPKT0_PS4_S4_
	.p2align	8
	.type	_Z6kernelI14inclusive_scanN6common11custom_typeIddLb0EEELj15ELj100EEvPKT0_PS4_S4_,@function
_Z6kernelI14inclusive_scanN6common11custom_typeIddLb0EEELj15ELj100EEvPKT0_PS4_S4_: ; @_Z6kernelI14inclusive_scanN6common11custom_typeIddLb0EEELj15ELj100EEvPKT0_PS4_S4_
; %bb.0:
	s_clause 0x1
	s_load_b32 s2, s[0:1], 0x2c
	s_load_b128 s[4:7], s[0:1], 0x0
	v_mbcnt_lo_u32_b32 v6, -1, 0
	s_movk_i32 s3, 0x64
	s_delay_alu instid0(VALU_DEP_1) | instskip(NEXT) | instid1(VALU_DEP_1)
	v_mul_hi_u32 v7, 0x11111112, v6
	v_mul_u32_u24_e32 v7, 15, v7
	s_delay_alu instid0(VALU_DEP_1) | instskip(SKIP_2) | instid1(SALU_CYCLE_1)
	v_sub_nc_u32_e32 v7, v6, v7
	s_waitcnt lgkmcnt(0)
	s_and_b32 s0, s2, 0xffff
	v_mad_u64_u32 v[1:2], null, s15, s0, v[0:1]
	s_delay_alu instid0(VALU_DEP_2)
	v_lshlrev_b32_e32 v6, 4, v7
	v_mov_b32_e32 v2, 0
	v_cmp_lt_u32_e64 s0, 1, v7
	v_cmp_lt_u32_e64 s1, 3, v7
	;; [unrolled: 1-line block ×3, first 2 shown]
	v_subrev_nc_u32_e32 v8, 32, v6
	v_lshlrev_b64 v[4:5], 4, v[1:2]
	v_subrev_nc_u32_e32 v9, 64, v6
	v_add_nc_u32_e32 v10, 0xffffff80, v6
	s_delay_alu instid0(VALU_DEP_3) | instskip(NEXT) | instid1(VALU_DEP_4)
	v_add_co_u32 v0, vcc_lo, s4, v4
	v_add_co_ci_u32_e32 v1, vcc_lo, s5, v5, vcc_lo
	v_cmp_ne_u32_e32 vcc_lo, 0, v7
	v_add_nc_u32_e32 v7, -16, v6
	global_load_b128 v[0:3], v[0:1], off
	s_branch .LBB41_2
.LBB41_1:                               ;   in Loop: Header=BB41_2 Depth=1
	s_or_b32 exec_lo, exec_lo, s4
	s_add_i32 s3, s3, -1
	s_delay_alu instid0(SALU_CYCLE_1)
	s_cmp_lg_u32 s3, 0
	; wave barrier
	s_cbranch_scc0 .LBB41_18
.LBB41_2:                               ; =>This Inner Loop Header: Depth=1
	s_waitcnt vmcnt(0)
	ds_store_2addr_b64 v6, v[0:1], v[2:3] offset1:1
	; wave barrier
	s_and_saveexec_b32 s4, vcc_lo
	s_cbranch_execz .LBB41_4
; %bb.3:                                ;   in Loop: Header=BB41_2 Depth=1
	ds_load_2addr_b64 v[11:14], v7 offset1:1
	s_waitcnt lgkmcnt(0)
	v_add_f64 v[0:1], v[0:1], v[11:12]
	v_add_f64 v[2:3], v[2:3], v[13:14]
.LBB41_4:                               ;   in Loop: Header=BB41_2 Depth=1
	s_or_b32 exec_lo, exec_lo, s4
	; wave barrier
	s_and_saveexec_b32 s4, vcc_lo
	s_cbranch_execz .LBB41_6
; %bb.5:                                ;   in Loop: Header=BB41_2 Depth=1
	ds_store_2addr_b64 v6, v[0:1], v[2:3] offset1:1
.LBB41_6:                               ;   in Loop: Header=BB41_2 Depth=1
	s_or_b32 exec_lo, exec_lo, s4
	; wave barrier
	s_and_saveexec_b32 s4, s0
	s_cbranch_execz .LBB41_8
; %bb.7:                                ;   in Loop: Header=BB41_2 Depth=1
	ds_load_2addr_b64 v[11:14], v8 offset1:1
	s_waitcnt lgkmcnt(0)
	v_add_f64 v[0:1], v[0:1], v[11:12]
	v_add_f64 v[2:3], v[2:3], v[13:14]
.LBB41_8:                               ;   in Loop: Header=BB41_2 Depth=1
	s_or_b32 exec_lo, exec_lo, s4
	; wave barrier
	s_and_saveexec_b32 s4, s0
	s_cbranch_execz .LBB41_10
; %bb.9:                                ;   in Loop: Header=BB41_2 Depth=1
	ds_store_2addr_b64 v6, v[0:1], v[2:3] offset1:1
.LBB41_10:                              ;   in Loop: Header=BB41_2 Depth=1
	s_or_b32 exec_lo, exec_lo, s4
	; wave barrier
	s_and_saveexec_b32 s4, s1
	s_cbranch_execz .LBB41_12
; %bb.11:                               ;   in Loop: Header=BB41_2 Depth=1
	ds_load_2addr_b64 v[11:14], v9 offset1:1
	s_waitcnt lgkmcnt(0)
	v_add_f64 v[0:1], v[0:1], v[11:12]
	v_add_f64 v[2:3], v[2:3], v[13:14]
.LBB41_12:                              ;   in Loop: Header=BB41_2 Depth=1
	s_or_b32 exec_lo, exec_lo, s4
	; wave barrier
	s_and_saveexec_b32 s4, s1
	s_cbranch_execz .LBB41_14
; %bb.13:                               ;   in Loop: Header=BB41_2 Depth=1
	ds_store_2addr_b64 v6, v[0:1], v[2:3] offset1:1
.LBB41_14:                              ;   in Loop: Header=BB41_2 Depth=1
	s_or_b32 exec_lo, exec_lo, s4
	; wave barrier
	s_and_saveexec_b32 s4, s2
	s_cbranch_execz .LBB41_16
; %bb.15:                               ;   in Loop: Header=BB41_2 Depth=1
	ds_load_2addr_b64 v[11:14], v10 offset1:1
	s_waitcnt lgkmcnt(0)
	v_add_f64 v[0:1], v[0:1], v[11:12]
	v_add_f64 v[2:3], v[2:3], v[13:14]
.LBB41_16:                              ;   in Loop: Header=BB41_2 Depth=1
	s_or_b32 exec_lo, exec_lo, s4
	; wave barrier
	s_and_saveexec_b32 s4, s2
	s_cbranch_execz .LBB41_1
; %bb.17:                               ;   in Loop: Header=BB41_2 Depth=1
	ds_store_2addr_b64 v6, v[0:1], v[2:3] offset1:1
	s_branch .LBB41_1
.LBB41_18:
	v_add_co_u32 v4, vcc_lo, s6, v4
	v_add_co_ci_u32_e32 v5, vcc_lo, s7, v5, vcc_lo
	global_store_b128 v[4:5], v[0:3], off
	s_nop 0
	s_sendmsg sendmsg(MSG_DEALLOC_VGPRS)
	s_endpgm
	.section	.rodata,"a",@progbits
	.p2align	6, 0x0
	.amdhsa_kernel _Z6kernelI14inclusive_scanN6common11custom_typeIddLb0EEELj15ELj100EEvPKT0_PS4_S4_
		.amdhsa_group_segment_fixed_size 240
		.amdhsa_private_segment_fixed_size 0
		.amdhsa_kernarg_size 288
		.amdhsa_user_sgpr_count 15
		.amdhsa_user_sgpr_dispatch_ptr 0
		.amdhsa_user_sgpr_queue_ptr 0
		.amdhsa_user_sgpr_kernarg_segment_ptr 1
		.amdhsa_user_sgpr_dispatch_id 0
		.amdhsa_user_sgpr_private_segment_size 0
		.amdhsa_wavefront_size32 1
		.amdhsa_uses_dynamic_stack 0
		.amdhsa_enable_private_segment 0
		.amdhsa_system_sgpr_workgroup_id_x 1
		.amdhsa_system_sgpr_workgroup_id_y 0
		.amdhsa_system_sgpr_workgroup_id_z 0
		.amdhsa_system_sgpr_workgroup_info 0
		.amdhsa_system_vgpr_workitem_id 0
		.amdhsa_next_free_vgpr 15
		.amdhsa_next_free_sgpr 16
		.amdhsa_reserve_vcc 1
		.amdhsa_float_round_mode_32 0
		.amdhsa_float_round_mode_16_64 0
		.amdhsa_float_denorm_mode_32 3
		.amdhsa_float_denorm_mode_16_64 3
		.amdhsa_dx10_clamp 1
		.amdhsa_ieee_mode 1
		.amdhsa_fp16_overflow 0
		.amdhsa_workgroup_processor_mode 1
		.amdhsa_memory_ordered 1
		.amdhsa_forward_progress 0
		.amdhsa_shared_vgpr_count 0
		.amdhsa_exception_fp_ieee_invalid_op 0
		.amdhsa_exception_fp_denorm_src 0
		.amdhsa_exception_fp_ieee_div_zero 0
		.amdhsa_exception_fp_ieee_overflow 0
		.amdhsa_exception_fp_ieee_underflow 0
		.amdhsa_exception_fp_ieee_inexact 0
		.amdhsa_exception_int_div_zero 0
	.end_amdhsa_kernel
	.section	.text._Z6kernelI14inclusive_scanN6common11custom_typeIddLb0EEELj15ELj100EEvPKT0_PS4_S4_,"axG",@progbits,_Z6kernelI14inclusive_scanN6common11custom_typeIddLb0EEELj15ELj100EEvPKT0_PS4_S4_,comdat
.Lfunc_end41:
	.size	_Z6kernelI14inclusive_scanN6common11custom_typeIddLb0EEELj15ELj100EEvPKT0_PS4_S4_, .Lfunc_end41-_Z6kernelI14inclusive_scanN6common11custom_typeIddLb0EEELj15ELj100EEvPKT0_PS4_S4_
                                        ; -- End function
	.section	.AMDGPU.csdata,"",@progbits
; Kernel info:
; codeLenInByte = 480
; NumSgprs: 18
; NumVgprs: 15
; ScratchSize: 0
; MemoryBound: 0
; FloatMode: 240
; IeeeMode: 1
; LDSByteSize: 240 bytes/workgroup (compile time only)
; SGPRBlocks: 2
; VGPRBlocks: 1
; NumSGPRsForWavesPerEU: 18
; NumVGPRsForWavesPerEU: 15
; Occupancy: 16
; WaveLimiterHint : 0
; COMPUTE_PGM_RSRC2:SCRATCH_EN: 0
; COMPUTE_PGM_RSRC2:USER_SGPR: 15
; COMPUTE_PGM_RSRC2:TRAP_HANDLER: 0
; COMPUTE_PGM_RSRC2:TGID_X_EN: 1
; COMPUTE_PGM_RSRC2:TGID_Y_EN: 0
; COMPUTE_PGM_RSRC2:TGID_Z_EN: 0
; COMPUTE_PGM_RSRC2:TIDIG_COMP_CNT: 0
	.section	.text._Z6kernelI14inclusive_scanN6common11custom_typeIidLb0EEELj64ELj100EEvPKT0_PS4_S4_,"axG",@progbits,_Z6kernelI14inclusive_scanN6common11custom_typeIidLb0EEELj64ELj100EEvPKT0_PS4_S4_,comdat
	.protected	_Z6kernelI14inclusive_scanN6common11custom_typeIidLb0EEELj64ELj100EEvPKT0_PS4_S4_ ; -- Begin function _Z6kernelI14inclusive_scanN6common11custom_typeIidLb0EEELj64ELj100EEvPKT0_PS4_S4_
	.globl	_Z6kernelI14inclusive_scanN6common11custom_typeIidLb0EEELj64ELj100EEvPKT0_PS4_S4_
	.p2align	8
	.type	_Z6kernelI14inclusive_scanN6common11custom_typeIidLb0EEELj64ELj100EEvPKT0_PS4_S4_,@function
_Z6kernelI14inclusive_scanN6common11custom_typeIidLb0EEELj64ELj100EEvPKT0_PS4_S4_: ; @_Z6kernelI14inclusive_scanN6common11custom_typeIidLb0EEELj64ELj100EEvPKT0_PS4_S4_
; %bb.0:
	s_clause 0x1
	s_load_b32 s4, s[0:1], 0x2c
	s_load_b128 s[0:3], s[0:1], 0x0
	s_waitcnt lgkmcnt(0)
	s_and_b32 s4, s4, 0xffff
	s_delay_alu instid0(SALU_CYCLE_1) | instskip(SKIP_1) | instid1(VALU_DEP_1)
	v_mad_u64_u32 v[1:2], null, s15, s4, v[0:1]
	v_mov_b32_e32 v2, 0
	v_lshlrev_b64 v[0:1], 4, v[1:2]
	s_delay_alu instid0(VALU_DEP_1) | instskip(NEXT) | instid1(VALU_DEP_2)
	v_add_co_u32 v2, vcc_lo, s0, v0
	v_add_co_ci_u32_e32 v3, vcc_lo, s1, v1, vcc_lo
	v_add_co_u32 v0, vcc_lo, s2, v0
	v_add_co_ci_u32_e32 v1, vcc_lo, s3, v1, vcc_lo
	s_clause 0x1
	global_load_b32 v4, v[2:3], off
	global_load_b64 v[2:3], v[2:3], off offset:8
	s_waitcnt vmcnt(1)
	global_store_b32 v[0:1], v4, off
	s_waitcnt vmcnt(0)
	global_store_b64 v[0:1], v[2:3], off offset:8
	s_nop 0
	s_sendmsg sendmsg(MSG_DEALLOC_VGPRS)
	s_endpgm
	.section	.rodata,"a",@progbits
	.p2align	6, 0x0
	.amdhsa_kernel _Z6kernelI14inclusive_scanN6common11custom_typeIidLb0EEELj64ELj100EEvPKT0_PS4_S4_
		.amdhsa_group_segment_fixed_size 0
		.amdhsa_private_segment_fixed_size 0
		.amdhsa_kernarg_size 288
		.amdhsa_user_sgpr_count 15
		.amdhsa_user_sgpr_dispatch_ptr 0
		.amdhsa_user_sgpr_queue_ptr 0
		.amdhsa_user_sgpr_kernarg_segment_ptr 1
		.amdhsa_user_sgpr_dispatch_id 0
		.amdhsa_user_sgpr_private_segment_size 0
		.amdhsa_wavefront_size32 1
		.amdhsa_uses_dynamic_stack 0
		.amdhsa_enable_private_segment 0
		.amdhsa_system_sgpr_workgroup_id_x 1
		.amdhsa_system_sgpr_workgroup_id_y 0
		.amdhsa_system_sgpr_workgroup_id_z 0
		.amdhsa_system_sgpr_workgroup_info 0
		.amdhsa_system_vgpr_workitem_id 0
		.amdhsa_next_free_vgpr 5
		.amdhsa_next_free_sgpr 16
		.amdhsa_reserve_vcc 1
		.amdhsa_float_round_mode_32 0
		.amdhsa_float_round_mode_16_64 0
		.amdhsa_float_denorm_mode_32 3
		.amdhsa_float_denorm_mode_16_64 3
		.amdhsa_dx10_clamp 1
		.amdhsa_ieee_mode 1
		.amdhsa_fp16_overflow 0
		.amdhsa_workgroup_processor_mode 1
		.amdhsa_memory_ordered 1
		.amdhsa_forward_progress 0
		.amdhsa_shared_vgpr_count 0
		.amdhsa_exception_fp_ieee_invalid_op 0
		.amdhsa_exception_fp_denorm_src 0
		.amdhsa_exception_fp_ieee_div_zero 0
		.amdhsa_exception_fp_ieee_overflow 0
		.amdhsa_exception_fp_ieee_underflow 0
		.amdhsa_exception_fp_ieee_inexact 0
		.amdhsa_exception_int_div_zero 0
	.end_amdhsa_kernel
	.section	.text._Z6kernelI14inclusive_scanN6common11custom_typeIidLb0EEELj64ELj100EEvPKT0_PS4_S4_,"axG",@progbits,_Z6kernelI14inclusive_scanN6common11custom_typeIidLb0EEELj64ELj100EEvPKT0_PS4_S4_,comdat
.Lfunc_end42:
	.size	_Z6kernelI14inclusive_scanN6common11custom_typeIidLb0EEELj64ELj100EEvPKT0_PS4_S4_, .Lfunc_end42-_Z6kernelI14inclusive_scanN6common11custom_typeIidLb0EEELj64ELj100EEvPKT0_PS4_S4_
                                        ; -- End function
	.section	.AMDGPU.csdata,"",@progbits
; Kernel info:
; codeLenInByte = 140
; NumSgprs: 18
; NumVgprs: 5
; ScratchSize: 0
; MemoryBound: 0
; FloatMode: 240
; IeeeMode: 1
; LDSByteSize: 0 bytes/workgroup (compile time only)
; SGPRBlocks: 2
; VGPRBlocks: 0
; NumSGPRsForWavesPerEU: 18
; NumVGPRsForWavesPerEU: 5
; Occupancy: 16
; WaveLimiterHint : 0
; COMPUTE_PGM_RSRC2:SCRATCH_EN: 0
; COMPUTE_PGM_RSRC2:USER_SGPR: 15
; COMPUTE_PGM_RSRC2:TRAP_HANDLER: 0
; COMPUTE_PGM_RSRC2:TGID_X_EN: 1
; COMPUTE_PGM_RSRC2:TGID_Y_EN: 0
; COMPUTE_PGM_RSRC2:TGID_Z_EN: 0
; COMPUTE_PGM_RSRC2:TIDIG_COMP_CNT: 0
	.section	.text._Z6kernelI14inclusive_scanN6common11custom_typeIidLb0EEELj32ELj100EEvPKT0_PS4_S4_,"axG",@progbits,_Z6kernelI14inclusive_scanN6common11custom_typeIidLb0EEELj32ELj100EEvPKT0_PS4_S4_,comdat
	.protected	_Z6kernelI14inclusive_scanN6common11custom_typeIidLb0EEELj32ELj100EEvPKT0_PS4_S4_ ; -- Begin function _Z6kernelI14inclusive_scanN6common11custom_typeIidLb0EEELj32ELj100EEvPKT0_PS4_S4_
	.globl	_Z6kernelI14inclusive_scanN6common11custom_typeIidLb0EEELj32ELj100EEvPKT0_PS4_S4_
	.p2align	8
	.type	_Z6kernelI14inclusive_scanN6common11custom_typeIidLb0EEELj32ELj100EEvPKT0_PS4_S4_,@function
_Z6kernelI14inclusive_scanN6common11custom_typeIidLb0EEELj32ELj100EEvPKT0_PS4_S4_: ; @_Z6kernelI14inclusive_scanN6common11custom_typeIidLb0EEELj32ELj100EEvPKT0_PS4_S4_
; %bb.0:
	s_clause 0x1
	s_load_b32 s2, s[0:1], 0x2c
	s_load_b128 s[4:7], s[0:1], 0x0
	v_mbcnt_lo_u32_b32 v4, -1, 0
	s_delay_alu instid0(VALU_DEP_1) | instskip(SKIP_1) | instid1(VALU_DEP_2)
	v_and_b32_e32 v5, 15, v4
	v_and_b32_e32 v4, 16, v4
	v_cmp_lt_u32_e64 s1, 3, v5
	s_delay_alu instid0(VALU_DEP_2)
	v_cmp_ne_u32_e64 s3, 0, v4
	s_waitcnt lgkmcnt(0)
	s_and_b32 s0, s2, 0xffff
	v_cmp_lt_u32_e64 s2, 7, v5
	v_mad_u64_u32 v[1:2], null, s15, s0, v[0:1]
	v_mov_b32_e32 v2, 0
	v_cmp_lt_u32_e64 s0, 1, v5
	s_delay_alu instid0(VALU_DEP_2) | instskip(NEXT) | instid1(VALU_DEP_1)
	v_lshlrev_b64 v[0:1], 4, v[1:2]
	v_add_co_u32 v2, vcc_lo, s4, v0
	s_delay_alu instid0(VALU_DEP_2)
	v_add_co_ci_u32_e32 v3, vcc_lo, s5, v1, vcc_lo
	v_cmp_ne_u32_e32 vcc_lo, 0, v5
	s_movk_i32 s4, 0x64
	s_clause 0x1
	global_load_b32 v6, v[2:3], off
	global_load_b64 v[2:3], v[2:3], off offset:8
	s_branch .LBB43_2
.LBB43_1:                               ;   in Loop: Header=BB43_2 Depth=1
	s_or_b32 exec_lo, exec_lo, s5
	s_add_i32 s4, s4, -1
	s_delay_alu instid0(SALU_CYCLE_1)
	s_cmp_lg_u32 s4, 0
	s_cbranch_scc0 .LBB43_12
.LBB43_2:                               ; =>This Inner Loop Header: Depth=1
	s_waitcnt vmcnt(1) lgkmcnt(2)
	v_mov_b32_dpp v7, v6 row_shr:1 row_mask:0xf bank_mask:0xf
	s_waitcnt vmcnt(0) lgkmcnt(1)
	s_delay_alu instid0(VALU_DEP_3) | instskip(SKIP_1) | instid1(VALU_DEP_4)
	v_mov_b32_dpp v4, v2 row_shr:1 row_mask:0xf bank_mask:0xf
	s_waitcnt lgkmcnt(0)
	v_mov_b32_dpp v5, v3 row_shr:1 row_mask:0xf bank_mask:0xf
	s_and_saveexec_b32 s5, vcc_lo
; %bb.3:                                ;   in Loop: Header=BB43_2 Depth=1
	s_delay_alu instid0(VALU_DEP_1)
	v_add_f64 v[2:3], v[2:3], v[4:5]
	v_add_nc_u32_e32 v6, v7, v6
; %bb.4:                                ;   in Loop: Header=BB43_2 Depth=1
	s_or_b32 exec_lo, exec_lo, s5
	s_delay_alu instid0(VALU_DEP_1) | instskip(NEXT) | instid1(VALU_DEP_3)
	v_mov_b32_dpp v7, v6 row_shr:2 row_mask:0xf bank_mask:0xf
	v_mov_b32_dpp v4, v2 row_shr:2 row_mask:0xf bank_mask:0xf
	s_delay_alu instid0(VALU_DEP_4)
	v_mov_b32_dpp v5, v3 row_shr:2 row_mask:0xf bank_mask:0xf
	s_and_saveexec_b32 s5, s0
; %bb.5:                                ;   in Loop: Header=BB43_2 Depth=1
	s_delay_alu instid0(VALU_DEP_1)
	v_add_f64 v[2:3], v[2:3], v[4:5]
	v_add_nc_u32_e32 v6, v7, v6
; %bb.6:                                ;   in Loop: Header=BB43_2 Depth=1
	s_or_b32 exec_lo, exec_lo, s5
	s_delay_alu instid0(VALU_DEP_1) | instskip(NEXT) | instid1(VALU_DEP_3)
	v_mov_b32_dpp v7, v6 row_shr:4 row_mask:0xf bank_mask:0xf
	v_mov_b32_dpp v4, v2 row_shr:4 row_mask:0xf bank_mask:0xf
	s_delay_alu instid0(VALU_DEP_4)
	v_mov_b32_dpp v5, v3 row_shr:4 row_mask:0xf bank_mask:0xf
	s_and_saveexec_b32 s5, s1
	;; [unrolled: 12-line block ×3, first 2 shown]
; %bb.9:                                ;   in Loop: Header=BB43_2 Depth=1
	s_delay_alu instid0(VALU_DEP_1)
	v_add_f64 v[2:3], v[2:3], v[4:5]
	v_add_nc_u32_e32 v6, v7, v6
; %bb.10:                               ;   in Loop: Header=BB43_2 Depth=1
	s_or_b32 exec_lo, exec_lo, s5
	ds_swizzle_b32 v7, v6 offset:swizzle(BROADCAST,32,15)
	ds_swizzle_b32 v4, v2 offset:swizzle(BROADCAST,32,15)
	;; [unrolled: 1-line block ×3, first 2 shown]
	s_and_saveexec_b32 s5, s3
	s_cbranch_execz .LBB43_1
; %bb.11:                               ;   in Loop: Header=BB43_2 Depth=1
	s_waitcnt lgkmcnt(0)
	v_add_f64 v[2:3], v[2:3], v[4:5]
	v_add_nc_u32_e32 v6, v7, v6
	s_branch .LBB43_1
.LBB43_12:
	v_add_co_u32 v0, vcc_lo, s6, v0
	v_add_co_ci_u32_e32 v1, vcc_lo, s7, v1, vcc_lo
	s_clause 0x1
	global_store_b32 v[0:1], v6, off
	global_store_b64 v[0:1], v[2:3], off offset:8
	s_nop 0
	s_sendmsg sendmsg(MSG_DEALLOC_VGPRS)
	s_endpgm
	.section	.rodata,"a",@progbits
	.p2align	6, 0x0
	.amdhsa_kernel _Z6kernelI14inclusive_scanN6common11custom_typeIidLb0EEELj32ELj100EEvPKT0_PS4_S4_
		.amdhsa_group_segment_fixed_size 0
		.amdhsa_private_segment_fixed_size 0
		.amdhsa_kernarg_size 288
		.amdhsa_user_sgpr_count 15
		.amdhsa_user_sgpr_dispatch_ptr 0
		.amdhsa_user_sgpr_queue_ptr 0
		.amdhsa_user_sgpr_kernarg_segment_ptr 1
		.amdhsa_user_sgpr_dispatch_id 0
		.amdhsa_user_sgpr_private_segment_size 0
		.amdhsa_wavefront_size32 1
		.amdhsa_uses_dynamic_stack 0
		.amdhsa_enable_private_segment 0
		.amdhsa_system_sgpr_workgroup_id_x 1
		.amdhsa_system_sgpr_workgroup_id_y 0
		.amdhsa_system_sgpr_workgroup_id_z 0
		.amdhsa_system_sgpr_workgroup_info 0
		.amdhsa_system_vgpr_workitem_id 0
		.amdhsa_next_free_vgpr 8
		.amdhsa_next_free_sgpr 16
		.amdhsa_reserve_vcc 1
		.amdhsa_float_round_mode_32 0
		.amdhsa_float_round_mode_16_64 0
		.amdhsa_float_denorm_mode_32 3
		.amdhsa_float_denorm_mode_16_64 3
		.amdhsa_dx10_clamp 1
		.amdhsa_ieee_mode 1
		.amdhsa_fp16_overflow 0
		.amdhsa_workgroup_processor_mode 1
		.amdhsa_memory_ordered 1
		.amdhsa_forward_progress 0
		.amdhsa_shared_vgpr_count 0
		.amdhsa_exception_fp_ieee_invalid_op 0
		.amdhsa_exception_fp_denorm_src 0
		.amdhsa_exception_fp_ieee_div_zero 0
		.amdhsa_exception_fp_ieee_overflow 0
		.amdhsa_exception_fp_ieee_underflow 0
		.amdhsa_exception_fp_ieee_inexact 0
		.amdhsa_exception_int_div_zero 0
	.end_amdhsa_kernel
	.section	.text._Z6kernelI14inclusive_scanN6common11custom_typeIidLb0EEELj32ELj100EEvPKT0_PS4_S4_,"axG",@progbits,_Z6kernelI14inclusive_scanN6common11custom_typeIidLb0EEELj32ELj100EEvPKT0_PS4_S4_,comdat
.Lfunc_end43:
	.size	_Z6kernelI14inclusive_scanN6common11custom_typeIidLb0EEELj32ELj100EEvPKT0_PS4_S4_, .Lfunc_end43-_Z6kernelI14inclusive_scanN6common11custom_typeIidLb0EEELj32ELj100EEvPKT0_PS4_S4_
                                        ; -- End function
	.section	.AMDGPU.csdata,"",@progbits
; Kernel info:
; codeLenInByte = 508
; NumSgprs: 18
; NumVgprs: 8
; ScratchSize: 0
; MemoryBound: 0
; FloatMode: 240
; IeeeMode: 1
; LDSByteSize: 0 bytes/workgroup (compile time only)
; SGPRBlocks: 2
; VGPRBlocks: 0
; NumSGPRsForWavesPerEU: 18
; NumVGPRsForWavesPerEU: 8
; Occupancy: 16
; WaveLimiterHint : 0
; COMPUTE_PGM_RSRC2:SCRATCH_EN: 0
; COMPUTE_PGM_RSRC2:USER_SGPR: 15
; COMPUTE_PGM_RSRC2:TRAP_HANDLER: 0
; COMPUTE_PGM_RSRC2:TGID_X_EN: 1
; COMPUTE_PGM_RSRC2:TGID_Y_EN: 0
; COMPUTE_PGM_RSRC2:TGID_Z_EN: 0
; COMPUTE_PGM_RSRC2:TIDIG_COMP_CNT: 0
	.section	.text._Z6kernelI14inclusive_scanN6common11custom_typeIidLb0EEELj16ELj100EEvPKT0_PS4_S4_,"axG",@progbits,_Z6kernelI14inclusive_scanN6common11custom_typeIidLb0EEELj16ELj100EEvPKT0_PS4_S4_,comdat
	.protected	_Z6kernelI14inclusive_scanN6common11custom_typeIidLb0EEELj16ELj100EEvPKT0_PS4_S4_ ; -- Begin function _Z6kernelI14inclusive_scanN6common11custom_typeIidLb0EEELj16ELj100EEvPKT0_PS4_S4_
	.globl	_Z6kernelI14inclusive_scanN6common11custom_typeIidLb0EEELj16ELj100EEvPKT0_PS4_S4_
	.p2align	8
	.type	_Z6kernelI14inclusive_scanN6common11custom_typeIidLb0EEELj16ELj100EEvPKT0_PS4_S4_,@function
_Z6kernelI14inclusive_scanN6common11custom_typeIidLb0EEELj16ELj100EEvPKT0_PS4_S4_: ; @_Z6kernelI14inclusive_scanN6common11custom_typeIidLb0EEELj16ELj100EEvPKT0_PS4_S4_
; %bb.0:
	s_clause 0x1
	s_load_b32 s2, s[0:1], 0x2c
	s_load_b128 s[4:7], s[0:1], 0x0
	v_mbcnt_lo_u32_b32 v4, -1, 0
	s_movk_i32 s3, 0x64
	s_delay_alu instid0(VALU_DEP_1) | instskip(NEXT) | instid1(VALU_DEP_1)
	v_and_b32_e32 v4, 15, v4
	v_cmp_lt_u32_e64 s1, 3, v4
	s_waitcnt lgkmcnt(0)
	s_and_b32 s0, s2, 0xffff
	v_cmp_lt_u32_e64 s2, 7, v4
	v_mad_u64_u32 v[1:2], null, s15, s0, v[0:1]
	v_mov_b32_e32 v2, 0
	v_cmp_lt_u32_e64 s0, 1, v4
	s_delay_alu instid0(VALU_DEP_2) | instskip(NEXT) | instid1(VALU_DEP_1)
	v_lshlrev_b64 v[0:1], 4, v[1:2]
	v_add_co_u32 v2, vcc_lo, s4, v0
	s_delay_alu instid0(VALU_DEP_2)
	v_add_co_ci_u32_e32 v3, vcc_lo, s5, v1, vcc_lo
	v_cmp_ne_u32_e32 vcc_lo, 0, v4
	s_clause 0x1
	global_load_b32 v6, v[2:3], off
	global_load_b64 v[2:3], v[2:3], off offset:8
	s_branch .LBB44_2
.LBB44_1:                               ;   in Loop: Header=BB44_2 Depth=1
	s_or_b32 exec_lo, exec_lo, s4
	s_add_i32 s3, s3, -1
	s_delay_alu instid0(SALU_CYCLE_1)
	s_cmp_lg_u32 s3, 0
	s_cbranch_scc0 .LBB44_10
.LBB44_2:                               ; =>This Inner Loop Header: Depth=1
	s_waitcnt vmcnt(1)
	v_mov_b32_dpp v7, v6 row_shr:1 row_mask:0xf bank_mask:0xf
	s_waitcnt vmcnt(0)
	s_delay_alu instid0(VALU_DEP_3) | instskip(NEXT) | instid1(VALU_DEP_4)
	v_mov_b32_dpp v4, v2 row_shr:1 row_mask:0xf bank_mask:0xf
	v_mov_b32_dpp v5, v3 row_shr:1 row_mask:0xf bank_mask:0xf
	s_and_saveexec_b32 s4, vcc_lo
; %bb.3:                                ;   in Loop: Header=BB44_2 Depth=1
	s_delay_alu instid0(VALU_DEP_1)
	v_add_f64 v[2:3], v[2:3], v[4:5]
	v_add_nc_u32_e32 v6, v7, v6
; %bb.4:                                ;   in Loop: Header=BB44_2 Depth=1
	s_or_b32 exec_lo, exec_lo, s4
	s_delay_alu instid0(VALU_DEP_1) | instskip(NEXT) | instid1(VALU_DEP_3)
	v_mov_b32_dpp v7, v6 row_shr:2 row_mask:0xf bank_mask:0xf
	v_mov_b32_dpp v4, v2 row_shr:2 row_mask:0xf bank_mask:0xf
	s_delay_alu instid0(VALU_DEP_4)
	v_mov_b32_dpp v5, v3 row_shr:2 row_mask:0xf bank_mask:0xf
	s_and_saveexec_b32 s4, s0
; %bb.5:                                ;   in Loop: Header=BB44_2 Depth=1
	s_delay_alu instid0(VALU_DEP_1)
	v_add_f64 v[2:3], v[2:3], v[4:5]
	v_add_nc_u32_e32 v6, v7, v6
; %bb.6:                                ;   in Loop: Header=BB44_2 Depth=1
	s_or_b32 exec_lo, exec_lo, s4
	s_delay_alu instid0(VALU_DEP_1) | instskip(NEXT) | instid1(VALU_DEP_3)
	v_mov_b32_dpp v7, v6 row_shr:4 row_mask:0xf bank_mask:0xf
	v_mov_b32_dpp v4, v2 row_shr:4 row_mask:0xf bank_mask:0xf
	s_delay_alu instid0(VALU_DEP_4)
	v_mov_b32_dpp v5, v3 row_shr:4 row_mask:0xf bank_mask:0xf
	s_and_saveexec_b32 s4, s1
	;; [unrolled: 12-line block ×3, first 2 shown]
	s_cbranch_execz .LBB44_1
; %bb.9:                                ;   in Loop: Header=BB44_2 Depth=1
	s_delay_alu instid0(VALU_DEP_1)
	v_add_f64 v[2:3], v[2:3], v[4:5]
	v_add_nc_u32_e32 v6, v7, v6
	s_branch .LBB44_1
.LBB44_10:
	v_add_co_u32 v0, vcc_lo, s6, v0
	v_add_co_ci_u32_e32 v1, vcc_lo, s7, v1, vcc_lo
	s_clause 0x1
	global_store_b32 v[0:1], v6, off
	global_store_b64 v[0:1], v[2:3], off offset:8
	s_nop 0
	s_sendmsg sendmsg(MSG_DEALLOC_VGPRS)
	s_endpgm
	.section	.rodata,"a",@progbits
	.p2align	6, 0x0
	.amdhsa_kernel _Z6kernelI14inclusive_scanN6common11custom_typeIidLb0EEELj16ELj100EEvPKT0_PS4_S4_
		.amdhsa_group_segment_fixed_size 0
		.amdhsa_private_segment_fixed_size 0
		.amdhsa_kernarg_size 288
		.amdhsa_user_sgpr_count 15
		.amdhsa_user_sgpr_dispatch_ptr 0
		.amdhsa_user_sgpr_queue_ptr 0
		.amdhsa_user_sgpr_kernarg_segment_ptr 1
		.amdhsa_user_sgpr_dispatch_id 0
		.amdhsa_user_sgpr_private_segment_size 0
		.amdhsa_wavefront_size32 1
		.amdhsa_uses_dynamic_stack 0
		.amdhsa_enable_private_segment 0
		.amdhsa_system_sgpr_workgroup_id_x 1
		.amdhsa_system_sgpr_workgroup_id_y 0
		.amdhsa_system_sgpr_workgroup_id_z 0
		.amdhsa_system_sgpr_workgroup_info 0
		.amdhsa_system_vgpr_workitem_id 0
		.amdhsa_next_free_vgpr 8
		.amdhsa_next_free_sgpr 16
		.amdhsa_reserve_vcc 1
		.amdhsa_float_round_mode_32 0
		.amdhsa_float_round_mode_16_64 0
		.amdhsa_float_denorm_mode_32 3
		.amdhsa_float_denorm_mode_16_64 3
		.amdhsa_dx10_clamp 1
		.amdhsa_ieee_mode 1
		.amdhsa_fp16_overflow 0
		.amdhsa_workgroup_processor_mode 1
		.amdhsa_memory_ordered 1
		.amdhsa_forward_progress 0
		.amdhsa_shared_vgpr_count 0
		.amdhsa_exception_fp_ieee_invalid_op 0
		.amdhsa_exception_fp_denorm_src 0
		.amdhsa_exception_fp_ieee_div_zero 0
		.amdhsa_exception_fp_ieee_overflow 0
		.amdhsa_exception_fp_ieee_underflow 0
		.amdhsa_exception_fp_ieee_inexact 0
		.amdhsa_exception_int_div_zero 0
	.end_amdhsa_kernel
	.section	.text._Z6kernelI14inclusive_scanN6common11custom_typeIidLb0EEELj16ELj100EEvPKT0_PS4_S4_,"axG",@progbits,_Z6kernelI14inclusive_scanN6common11custom_typeIidLb0EEELj16ELj100EEvPKT0_PS4_S4_,comdat
.Lfunc_end44:
	.size	_Z6kernelI14inclusive_scanN6common11custom_typeIidLb0EEELj16ELj100EEvPKT0_PS4_S4_, .Lfunc_end44-_Z6kernelI14inclusive_scanN6common11custom_typeIidLb0EEELj16ELj100EEvPKT0_PS4_S4_
                                        ; -- End function
	.section	.AMDGPU.csdata,"",@progbits
; Kernel info:
; codeLenInByte = 440
; NumSgprs: 18
; NumVgprs: 8
; ScratchSize: 0
; MemoryBound: 0
; FloatMode: 240
; IeeeMode: 1
; LDSByteSize: 0 bytes/workgroup (compile time only)
; SGPRBlocks: 2
; VGPRBlocks: 0
; NumSGPRsForWavesPerEU: 18
; NumVGPRsForWavesPerEU: 8
; Occupancy: 16
; WaveLimiterHint : 0
; COMPUTE_PGM_RSRC2:SCRATCH_EN: 0
; COMPUTE_PGM_RSRC2:USER_SGPR: 15
; COMPUTE_PGM_RSRC2:TRAP_HANDLER: 0
; COMPUTE_PGM_RSRC2:TGID_X_EN: 1
; COMPUTE_PGM_RSRC2:TGID_Y_EN: 0
; COMPUTE_PGM_RSRC2:TGID_Z_EN: 0
; COMPUTE_PGM_RSRC2:TIDIG_COMP_CNT: 0
	.section	.text._Z6kernelI14inclusive_scanN6common11custom_typeIidLb0EEELj63ELj100EEvPKT0_PS4_S4_,"axG",@progbits,_Z6kernelI14inclusive_scanN6common11custom_typeIidLb0EEELj63ELj100EEvPKT0_PS4_S4_,comdat
	.protected	_Z6kernelI14inclusive_scanN6common11custom_typeIidLb0EEELj63ELj100EEvPKT0_PS4_S4_ ; -- Begin function _Z6kernelI14inclusive_scanN6common11custom_typeIidLb0EEELj63ELj100EEvPKT0_PS4_S4_
	.globl	_Z6kernelI14inclusive_scanN6common11custom_typeIidLb0EEELj63ELj100EEvPKT0_PS4_S4_
	.p2align	8
	.type	_Z6kernelI14inclusive_scanN6common11custom_typeIidLb0EEELj63ELj100EEvPKT0_PS4_S4_,@function
_Z6kernelI14inclusive_scanN6common11custom_typeIidLb0EEELj63ELj100EEvPKT0_PS4_S4_: ; @_Z6kernelI14inclusive_scanN6common11custom_typeIidLb0EEELj63ELj100EEvPKT0_PS4_S4_
; %bb.0:
	s_clause 0x1
	s_load_b32 s4, s[0:1], 0x2c
	s_load_b128 s[0:3], s[0:1], 0x0
	s_waitcnt lgkmcnt(0)
	s_and_b32 s4, s4, 0xffff
	s_delay_alu instid0(SALU_CYCLE_1) | instskip(SKIP_1) | instid1(VALU_DEP_1)
	v_mad_u64_u32 v[1:2], null, s15, s4, v[0:1]
	v_mov_b32_e32 v2, 0
	v_lshlrev_b64 v[0:1], 4, v[1:2]
	s_delay_alu instid0(VALU_DEP_1) | instskip(NEXT) | instid1(VALU_DEP_2)
	v_add_co_u32 v2, vcc_lo, s0, v0
	v_add_co_ci_u32_e32 v3, vcc_lo, s1, v1, vcc_lo
	v_add_co_u32 v0, vcc_lo, s2, v0
	v_add_co_ci_u32_e32 v1, vcc_lo, s3, v1, vcc_lo
	s_clause 0x1
	global_load_b32 v4, v[2:3], off
	global_load_b64 v[2:3], v[2:3], off offset:8
	s_waitcnt vmcnt(1)
	global_store_b32 v[0:1], v4, off
	s_waitcnt vmcnt(0)
	global_store_b64 v[0:1], v[2:3], off offset:8
	s_nop 0
	s_sendmsg sendmsg(MSG_DEALLOC_VGPRS)
	s_endpgm
	.section	.rodata,"a",@progbits
	.p2align	6, 0x0
	.amdhsa_kernel _Z6kernelI14inclusive_scanN6common11custom_typeIidLb0EEELj63ELj100EEvPKT0_PS4_S4_
		.amdhsa_group_segment_fixed_size 0
		.amdhsa_private_segment_fixed_size 0
		.amdhsa_kernarg_size 288
		.amdhsa_user_sgpr_count 15
		.amdhsa_user_sgpr_dispatch_ptr 0
		.amdhsa_user_sgpr_queue_ptr 0
		.amdhsa_user_sgpr_kernarg_segment_ptr 1
		.amdhsa_user_sgpr_dispatch_id 0
		.amdhsa_user_sgpr_private_segment_size 0
		.amdhsa_wavefront_size32 1
		.amdhsa_uses_dynamic_stack 0
		.amdhsa_enable_private_segment 0
		.amdhsa_system_sgpr_workgroup_id_x 1
		.amdhsa_system_sgpr_workgroup_id_y 0
		.amdhsa_system_sgpr_workgroup_id_z 0
		.amdhsa_system_sgpr_workgroup_info 0
		.amdhsa_system_vgpr_workitem_id 0
		.amdhsa_next_free_vgpr 5
		.amdhsa_next_free_sgpr 16
		.amdhsa_reserve_vcc 1
		.amdhsa_float_round_mode_32 0
		.amdhsa_float_round_mode_16_64 0
		.amdhsa_float_denorm_mode_32 3
		.amdhsa_float_denorm_mode_16_64 3
		.amdhsa_dx10_clamp 1
		.amdhsa_ieee_mode 1
		.amdhsa_fp16_overflow 0
		.amdhsa_workgroup_processor_mode 1
		.amdhsa_memory_ordered 1
		.amdhsa_forward_progress 0
		.amdhsa_shared_vgpr_count 0
		.amdhsa_exception_fp_ieee_invalid_op 0
		.amdhsa_exception_fp_denorm_src 0
		.amdhsa_exception_fp_ieee_div_zero 0
		.amdhsa_exception_fp_ieee_overflow 0
		.amdhsa_exception_fp_ieee_underflow 0
		.amdhsa_exception_fp_ieee_inexact 0
		.amdhsa_exception_int_div_zero 0
	.end_amdhsa_kernel
	.section	.text._Z6kernelI14inclusive_scanN6common11custom_typeIidLb0EEELj63ELj100EEvPKT0_PS4_S4_,"axG",@progbits,_Z6kernelI14inclusive_scanN6common11custom_typeIidLb0EEELj63ELj100EEvPKT0_PS4_S4_,comdat
.Lfunc_end45:
	.size	_Z6kernelI14inclusive_scanN6common11custom_typeIidLb0EEELj63ELj100EEvPKT0_PS4_S4_, .Lfunc_end45-_Z6kernelI14inclusive_scanN6common11custom_typeIidLb0EEELj63ELj100EEvPKT0_PS4_S4_
                                        ; -- End function
	.section	.AMDGPU.csdata,"",@progbits
; Kernel info:
; codeLenInByte = 140
; NumSgprs: 18
; NumVgprs: 5
; ScratchSize: 0
; MemoryBound: 0
; FloatMode: 240
; IeeeMode: 1
; LDSByteSize: 0 bytes/workgroup (compile time only)
; SGPRBlocks: 2
; VGPRBlocks: 0
; NumSGPRsForWavesPerEU: 18
; NumVGPRsForWavesPerEU: 5
; Occupancy: 16
; WaveLimiterHint : 0
; COMPUTE_PGM_RSRC2:SCRATCH_EN: 0
; COMPUTE_PGM_RSRC2:USER_SGPR: 15
; COMPUTE_PGM_RSRC2:TRAP_HANDLER: 0
; COMPUTE_PGM_RSRC2:TGID_X_EN: 1
; COMPUTE_PGM_RSRC2:TGID_Y_EN: 0
; COMPUTE_PGM_RSRC2:TGID_Z_EN: 0
; COMPUTE_PGM_RSRC2:TIDIG_COMP_CNT: 0
	.section	.text._Z6kernelI14inclusive_scanN6common11custom_typeIidLb0EEELj31ELj100EEvPKT0_PS4_S4_,"axG",@progbits,_Z6kernelI14inclusive_scanN6common11custom_typeIidLb0EEELj31ELj100EEvPKT0_PS4_S4_,comdat
	.protected	_Z6kernelI14inclusive_scanN6common11custom_typeIidLb0EEELj31ELj100EEvPKT0_PS4_S4_ ; -- Begin function _Z6kernelI14inclusive_scanN6common11custom_typeIidLb0EEELj31ELj100EEvPKT0_PS4_S4_
	.globl	_Z6kernelI14inclusive_scanN6common11custom_typeIidLb0EEELj31ELj100EEvPKT0_PS4_S4_
	.p2align	8
	.type	_Z6kernelI14inclusive_scanN6common11custom_typeIidLb0EEELj31ELj100EEvPKT0_PS4_S4_,@function
_Z6kernelI14inclusive_scanN6common11custom_typeIidLb0EEELj31ELj100EEvPKT0_PS4_S4_: ; @_Z6kernelI14inclusive_scanN6common11custom_typeIidLb0EEELj31ELj100EEvPKT0_PS4_S4_
; %bb.0:
	s_clause 0x1
	s_load_b32 s2, s[0:1], 0x2c
	s_load_b128 s[4:7], s[0:1], 0x0
	v_mbcnt_lo_u32_b32 v5, -1, 0
	s_delay_alu instid0(VALU_DEP_1) | instskip(NEXT) | instid1(VALU_DEP_1)
	v_mul_hi_u32 v6, 0x8421085, v5
	v_mul_u32_u24_e32 v6, 31, v6
	s_delay_alu instid0(VALU_DEP_1) | instskip(SKIP_2) | instid1(SALU_CYCLE_1)
	v_sub_nc_u32_e32 v6, v5, v6
	s_waitcnt lgkmcnt(0)
	s_and_b32 s0, s2, 0xffff
	v_mad_u64_u32 v[1:2], null, s15, s0, v[0:1]
	s_delay_alu instid0(VALU_DEP_2)
	v_dual_mov_b32 v2, 0 :: v_dual_lshlrev_b32 v5, 4, v6
	v_cmp_lt_u32_e64 s0, 1, v6
	v_cmp_lt_u32_e64 s1, 3, v6
	;; [unrolled: 1-line block ×4, first 2 shown]
	v_lshlrev_b64 v[0:1], 4, v[1:2]
	v_subrev_nc_u32_e32 v7, 32, v5
	v_subrev_nc_u32_e32 v8, 64, v5
	v_add_nc_u32_e32 v9, 0xffffff80, v5
	v_add_nc_u32_e32 v10, 0xffffff00, v5
	v_add_co_u32 v2, vcc_lo, s4, v0
	v_add_co_ci_u32_e32 v3, vcc_lo, s5, v1, vcc_lo
	v_cmp_ne_u32_e32 vcc_lo, 0, v6
	v_add_nc_u32_e32 v6, -16, v5
	s_clause 0x1
	global_load_b32 v4, v[2:3], off
	global_load_b64 v[2:3], v[2:3], off offset:8
	s_movk_i32 s4, 0x64
	s_branch .LBB46_2
.LBB46_1:                               ;   in Loop: Header=BB46_2 Depth=1
	s_or_b32 exec_lo, exec_lo, s5
	s_add_i32 s4, s4, -1
	s_delay_alu instid0(SALU_CYCLE_1)
	s_cmp_lg_u32 s4, 0
	; wave barrier
	s_cbranch_scc0 .LBB46_22
.LBB46_2:                               ; =>This Inner Loop Header: Depth=1
	s_waitcnt vmcnt(1)
	ds_store_b32 v5, v4
	s_waitcnt vmcnt(0)
	ds_store_b64 v5, v[2:3] offset:8
	; wave barrier
	s_and_saveexec_b32 s5, vcc_lo
	s_cbranch_execz .LBB46_4
; %bb.3:                                ;   in Loop: Header=BB46_2 Depth=1
	ds_load_b64 v[11:12], v6 offset:8
	s_waitcnt lgkmcnt(0)
	v_add_f64 v[2:3], v[2:3], v[11:12]
	ds_load_b32 v11, v6
	s_waitcnt lgkmcnt(0)
	v_add_nc_u32_e32 v4, v11, v4
.LBB46_4:                               ;   in Loop: Header=BB46_2 Depth=1
	s_or_b32 exec_lo, exec_lo, s5
	; wave barrier
	s_and_saveexec_b32 s5, vcc_lo
	s_cbranch_execz .LBB46_6
; %bb.5:                                ;   in Loop: Header=BB46_2 Depth=1
	ds_store_b32 v5, v4
	ds_store_b64 v5, v[2:3] offset:8
.LBB46_6:                               ;   in Loop: Header=BB46_2 Depth=1
	s_or_b32 exec_lo, exec_lo, s5
	; wave barrier
	s_and_saveexec_b32 s5, s0
	s_cbranch_execz .LBB46_8
; %bb.7:                                ;   in Loop: Header=BB46_2 Depth=1
	ds_load_b64 v[11:12], v7 offset:8
	s_waitcnt lgkmcnt(0)
	v_add_f64 v[2:3], v[2:3], v[11:12]
	ds_load_b32 v11, v7
	s_waitcnt lgkmcnt(0)
	v_add_nc_u32_e32 v4, v11, v4
.LBB46_8:                               ;   in Loop: Header=BB46_2 Depth=1
	s_or_b32 exec_lo, exec_lo, s5
	; wave barrier
	s_and_saveexec_b32 s5, s0
	s_cbranch_execz .LBB46_10
; %bb.9:                                ;   in Loop: Header=BB46_2 Depth=1
	ds_store_b32 v5, v4
	ds_store_b64 v5, v[2:3] offset:8
.LBB46_10:                              ;   in Loop: Header=BB46_2 Depth=1
	s_or_b32 exec_lo, exec_lo, s5
	; wave barrier
	s_and_saveexec_b32 s5, s1
	s_cbranch_execz .LBB46_12
; %bb.11:                               ;   in Loop: Header=BB46_2 Depth=1
	ds_load_b64 v[11:12], v8 offset:8
	s_waitcnt lgkmcnt(0)
	v_add_f64 v[2:3], v[2:3], v[11:12]
	ds_load_b32 v11, v8
	s_waitcnt lgkmcnt(0)
	v_add_nc_u32_e32 v4, v11, v4
.LBB46_12:                              ;   in Loop: Header=BB46_2 Depth=1
	s_or_b32 exec_lo, exec_lo, s5
	; wave barrier
	s_and_saveexec_b32 s5, s1
	s_cbranch_execz .LBB46_14
; %bb.13:                               ;   in Loop: Header=BB46_2 Depth=1
	ds_store_b32 v5, v4
	ds_store_b64 v5, v[2:3] offset:8
.LBB46_14:                              ;   in Loop: Header=BB46_2 Depth=1
	s_or_b32 exec_lo, exec_lo, s5
	; wave barrier
	s_and_saveexec_b32 s5, s2
	s_cbranch_execz .LBB46_16
; %bb.15:                               ;   in Loop: Header=BB46_2 Depth=1
	ds_load_b64 v[11:12], v9 offset:8
	s_waitcnt lgkmcnt(0)
	v_add_f64 v[2:3], v[2:3], v[11:12]
	ds_load_b32 v11, v9
	s_waitcnt lgkmcnt(0)
	v_add_nc_u32_e32 v4, v11, v4
.LBB46_16:                              ;   in Loop: Header=BB46_2 Depth=1
	s_or_b32 exec_lo, exec_lo, s5
	; wave barrier
	s_and_saveexec_b32 s5, s2
	s_cbranch_execz .LBB46_18
; %bb.17:                               ;   in Loop: Header=BB46_2 Depth=1
	ds_store_b32 v5, v4
	ds_store_b64 v5, v[2:3] offset:8
.LBB46_18:                              ;   in Loop: Header=BB46_2 Depth=1
	s_or_b32 exec_lo, exec_lo, s5
	; wave barrier
	s_and_saveexec_b32 s5, s3
	s_cbranch_execz .LBB46_20
; %bb.19:                               ;   in Loop: Header=BB46_2 Depth=1
	ds_load_b64 v[11:12], v10 offset:8
	s_waitcnt lgkmcnt(0)
	v_add_f64 v[2:3], v[2:3], v[11:12]
	ds_load_b32 v11, v10
	s_waitcnt lgkmcnt(0)
	v_add_nc_u32_e32 v4, v11, v4
.LBB46_20:                              ;   in Loop: Header=BB46_2 Depth=1
	s_or_b32 exec_lo, exec_lo, s5
	; wave barrier
	s_and_saveexec_b32 s5, s3
	s_cbranch_execz .LBB46_1
; %bb.21:                               ;   in Loop: Header=BB46_2 Depth=1
	ds_store_b32 v5, v4
	ds_store_b64 v5, v[2:3] offset:8
	s_branch .LBB46_1
.LBB46_22:
	v_add_co_u32 v0, vcc_lo, s6, v0
	v_add_co_ci_u32_e32 v1, vcc_lo, s7, v1, vcc_lo
	s_clause 0x1
	global_store_b32 v[0:1], v4, off
	global_store_b64 v[0:1], v[2:3], off offset:8
	s_nop 0
	s_sendmsg sendmsg(MSG_DEALLOC_VGPRS)
	s_endpgm
	.section	.rodata,"a",@progbits
	.p2align	6, 0x0
	.amdhsa_kernel _Z6kernelI14inclusive_scanN6common11custom_typeIidLb0EEELj31ELj100EEvPKT0_PS4_S4_
		.amdhsa_group_segment_fixed_size 496
		.amdhsa_private_segment_fixed_size 0
		.amdhsa_kernarg_size 288
		.amdhsa_user_sgpr_count 15
		.amdhsa_user_sgpr_dispatch_ptr 0
		.amdhsa_user_sgpr_queue_ptr 0
		.amdhsa_user_sgpr_kernarg_segment_ptr 1
		.amdhsa_user_sgpr_dispatch_id 0
		.amdhsa_user_sgpr_private_segment_size 0
		.amdhsa_wavefront_size32 1
		.amdhsa_uses_dynamic_stack 0
		.amdhsa_enable_private_segment 0
		.amdhsa_system_sgpr_workgroup_id_x 1
		.amdhsa_system_sgpr_workgroup_id_y 0
		.amdhsa_system_sgpr_workgroup_id_z 0
		.amdhsa_system_sgpr_workgroup_info 0
		.amdhsa_system_vgpr_workitem_id 0
		.amdhsa_next_free_vgpr 13
		.amdhsa_next_free_sgpr 16
		.amdhsa_reserve_vcc 1
		.amdhsa_float_round_mode_32 0
		.amdhsa_float_round_mode_16_64 0
		.amdhsa_float_denorm_mode_32 3
		.amdhsa_float_denorm_mode_16_64 3
		.amdhsa_dx10_clamp 1
		.amdhsa_ieee_mode 1
		.amdhsa_fp16_overflow 0
		.amdhsa_workgroup_processor_mode 1
		.amdhsa_memory_ordered 1
		.amdhsa_forward_progress 0
		.amdhsa_shared_vgpr_count 0
		.amdhsa_exception_fp_ieee_invalid_op 0
		.amdhsa_exception_fp_denorm_src 0
		.amdhsa_exception_fp_ieee_div_zero 0
		.amdhsa_exception_fp_ieee_overflow 0
		.amdhsa_exception_fp_ieee_underflow 0
		.amdhsa_exception_fp_ieee_inexact 0
		.amdhsa_exception_int_div_zero 0
	.end_amdhsa_kernel
	.section	.text._Z6kernelI14inclusive_scanN6common11custom_typeIidLb0EEELj31ELj100EEvPKT0_PS4_S4_,"axG",@progbits,_Z6kernelI14inclusive_scanN6common11custom_typeIidLb0EEELj31ELj100EEvPKT0_PS4_S4_,comdat
.Lfunc_end46:
	.size	_Z6kernelI14inclusive_scanN6common11custom_typeIidLb0EEELj31ELj100EEvPKT0_PS4_S4_, .Lfunc_end46-_Z6kernelI14inclusive_scanN6common11custom_typeIidLb0EEELj31ELj100EEvPKT0_PS4_S4_
                                        ; -- End function
	.section	.AMDGPU.csdata,"",@progbits
; Kernel info:
; codeLenInByte = 668
; NumSgprs: 18
; NumVgprs: 13
; ScratchSize: 0
; MemoryBound: 0
; FloatMode: 240
; IeeeMode: 1
; LDSByteSize: 496 bytes/workgroup (compile time only)
; SGPRBlocks: 2
; VGPRBlocks: 1
; NumSGPRsForWavesPerEU: 18
; NumVGPRsForWavesPerEU: 13
; Occupancy: 16
; WaveLimiterHint : 0
; COMPUTE_PGM_RSRC2:SCRATCH_EN: 0
; COMPUTE_PGM_RSRC2:USER_SGPR: 15
; COMPUTE_PGM_RSRC2:TRAP_HANDLER: 0
; COMPUTE_PGM_RSRC2:TGID_X_EN: 1
; COMPUTE_PGM_RSRC2:TGID_Y_EN: 0
; COMPUTE_PGM_RSRC2:TGID_Z_EN: 0
; COMPUTE_PGM_RSRC2:TIDIG_COMP_CNT: 0
	.section	.text._Z6kernelI14inclusive_scanN6common11custom_typeIidLb0EEELj15ELj100EEvPKT0_PS4_S4_,"axG",@progbits,_Z6kernelI14inclusive_scanN6common11custom_typeIidLb0EEELj15ELj100EEvPKT0_PS4_S4_,comdat
	.protected	_Z6kernelI14inclusive_scanN6common11custom_typeIidLb0EEELj15ELj100EEvPKT0_PS4_S4_ ; -- Begin function _Z6kernelI14inclusive_scanN6common11custom_typeIidLb0EEELj15ELj100EEvPKT0_PS4_S4_
	.globl	_Z6kernelI14inclusive_scanN6common11custom_typeIidLb0EEELj15ELj100EEvPKT0_PS4_S4_
	.p2align	8
	.type	_Z6kernelI14inclusive_scanN6common11custom_typeIidLb0EEELj15ELj100EEvPKT0_PS4_S4_,@function
_Z6kernelI14inclusive_scanN6common11custom_typeIidLb0EEELj15ELj100EEvPKT0_PS4_S4_: ; @_Z6kernelI14inclusive_scanN6common11custom_typeIidLb0EEELj15ELj100EEvPKT0_PS4_S4_
; %bb.0:
	s_clause 0x1
	s_load_b32 s2, s[0:1], 0x2c
	s_load_b128 s[4:7], s[0:1], 0x0
	v_mbcnt_lo_u32_b32 v5, -1, 0
	s_movk_i32 s3, 0x64
	s_delay_alu instid0(VALU_DEP_1) | instskip(NEXT) | instid1(VALU_DEP_1)
	v_mul_hi_u32 v6, 0x11111112, v5
	v_mul_u32_u24_e32 v6, 15, v6
	s_delay_alu instid0(VALU_DEP_1) | instskip(SKIP_2) | instid1(SALU_CYCLE_1)
	v_sub_nc_u32_e32 v6, v5, v6
	s_waitcnt lgkmcnt(0)
	s_and_b32 s0, s2, 0xffff
	v_mad_u64_u32 v[1:2], null, s15, s0, v[0:1]
	s_delay_alu instid0(VALU_DEP_2) | instskip(SKIP_3) | instid1(VALU_DEP_4)
	v_dual_mov_b32 v2, 0 :: v_dual_lshlrev_b32 v5, 4, v6
	v_cmp_lt_u32_e64 s0, 1, v6
	v_cmp_lt_u32_e64 s1, 3, v6
	;; [unrolled: 1-line block ×3, first 2 shown]
	v_lshlrev_b64 v[0:1], 4, v[1:2]
	v_subrev_nc_u32_e32 v7, 32, v5
	v_subrev_nc_u32_e32 v8, 64, v5
	v_add_nc_u32_e32 v9, 0xffffff80, v5
	s_delay_alu instid0(VALU_DEP_4)
	v_add_co_u32 v2, vcc_lo, s4, v0
	v_add_co_ci_u32_e32 v3, vcc_lo, s5, v1, vcc_lo
	v_cmp_ne_u32_e32 vcc_lo, 0, v6
	v_add_nc_u32_e32 v6, -16, v5
	s_clause 0x1
	global_load_b32 v4, v[2:3], off
	global_load_b64 v[2:3], v[2:3], off offset:8
	s_branch .LBB47_2
.LBB47_1:                               ;   in Loop: Header=BB47_2 Depth=1
	s_or_b32 exec_lo, exec_lo, s4
	s_add_i32 s3, s3, -1
	s_delay_alu instid0(SALU_CYCLE_1)
	s_cmp_lg_u32 s3, 0
	; wave barrier
	s_cbranch_scc0 .LBB47_18
.LBB47_2:                               ; =>This Inner Loop Header: Depth=1
	s_waitcnt vmcnt(1)
	ds_store_b32 v5, v4
	s_waitcnt vmcnt(0)
	ds_store_b64 v5, v[2:3] offset:8
	; wave barrier
	s_and_saveexec_b32 s4, vcc_lo
	s_cbranch_execz .LBB47_4
; %bb.3:                                ;   in Loop: Header=BB47_2 Depth=1
	ds_load_b64 v[10:11], v6 offset:8
	s_waitcnt lgkmcnt(0)
	v_add_f64 v[2:3], v[2:3], v[10:11]
	ds_load_b32 v10, v6
	s_waitcnt lgkmcnt(0)
	v_add_nc_u32_e32 v4, v10, v4
.LBB47_4:                               ;   in Loop: Header=BB47_2 Depth=1
	s_or_b32 exec_lo, exec_lo, s4
	; wave barrier
	s_and_saveexec_b32 s4, vcc_lo
	s_cbranch_execz .LBB47_6
; %bb.5:                                ;   in Loop: Header=BB47_2 Depth=1
	ds_store_b32 v5, v4
	ds_store_b64 v5, v[2:3] offset:8
.LBB47_6:                               ;   in Loop: Header=BB47_2 Depth=1
	s_or_b32 exec_lo, exec_lo, s4
	; wave barrier
	s_and_saveexec_b32 s4, s0
	s_cbranch_execz .LBB47_8
; %bb.7:                                ;   in Loop: Header=BB47_2 Depth=1
	ds_load_b64 v[10:11], v7 offset:8
	s_waitcnt lgkmcnt(0)
	v_add_f64 v[2:3], v[2:3], v[10:11]
	ds_load_b32 v10, v7
	s_waitcnt lgkmcnt(0)
	v_add_nc_u32_e32 v4, v10, v4
.LBB47_8:                               ;   in Loop: Header=BB47_2 Depth=1
	s_or_b32 exec_lo, exec_lo, s4
	; wave barrier
	s_and_saveexec_b32 s4, s0
	s_cbranch_execz .LBB47_10
; %bb.9:                                ;   in Loop: Header=BB47_2 Depth=1
	ds_store_b32 v5, v4
	ds_store_b64 v5, v[2:3] offset:8
.LBB47_10:                              ;   in Loop: Header=BB47_2 Depth=1
	s_or_b32 exec_lo, exec_lo, s4
	; wave barrier
	s_and_saveexec_b32 s4, s1
	s_cbranch_execz .LBB47_12
; %bb.11:                               ;   in Loop: Header=BB47_2 Depth=1
	ds_load_b64 v[10:11], v8 offset:8
	s_waitcnt lgkmcnt(0)
	v_add_f64 v[2:3], v[2:3], v[10:11]
	ds_load_b32 v10, v8
	s_waitcnt lgkmcnt(0)
	v_add_nc_u32_e32 v4, v10, v4
.LBB47_12:                              ;   in Loop: Header=BB47_2 Depth=1
	s_or_b32 exec_lo, exec_lo, s4
	; wave barrier
	s_and_saveexec_b32 s4, s1
	s_cbranch_execz .LBB47_14
; %bb.13:                               ;   in Loop: Header=BB47_2 Depth=1
	ds_store_b32 v5, v4
	ds_store_b64 v5, v[2:3] offset:8
.LBB47_14:                              ;   in Loop: Header=BB47_2 Depth=1
	s_or_b32 exec_lo, exec_lo, s4
	; wave barrier
	s_and_saveexec_b32 s4, s2
	s_cbranch_execz .LBB47_16
; %bb.15:                               ;   in Loop: Header=BB47_2 Depth=1
	ds_load_b64 v[10:11], v9 offset:8
	s_waitcnt lgkmcnt(0)
	v_add_f64 v[2:3], v[2:3], v[10:11]
	ds_load_b32 v10, v9
	s_waitcnt lgkmcnt(0)
	v_add_nc_u32_e32 v4, v10, v4
.LBB47_16:                              ;   in Loop: Header=BB47_2 Depth=1
	s_or_b32 exec_lo, exec_lo, s4
	; wave barrier
	s_and_saveexec_b32 s4, s2
	s_cbranch_execz .LBB47_1
; %bb.17:                               ;   in Loop: Header=BB47_2 Depth=1
	ds_store_b32 v5, v4
	ds_store_b64 v5, v[2:3] offset:8
	s_branch .LBB47_1
.LBB47_18:
	v_add_co_u32 v0, vcc_lo, s6, v0
	v_add_co_ci_u32_e32 v1, vcc_lo, s7, v1, vcc_lo
	s_clause 0x1
	global_store_b32 v[0:1], v4, off
	global_store_b64 v[0:1], v[2:3], off offset:8
	s_nop 0
	s_sendmsg sendmsg(MSG_DEALLOC_VGPRS)
	s_endpgm
	.section	.rodata,"a",@progbits
	.p2align	6, 0x0
	.amdhsa_kernel _Z6kernelI14inclusive_scanN6common11custom_typeIidLb0EEELj15ELj100EEvPKT0_PS4_S4_
		.amdhsa_group_segment_fixed_size 240
		.amdhsa_private_segment_fixed_size 0
		.amdhsa_kernarg_size 288
		.amdhsa_user_sgpr_count 15
		.amdhsa_user_sgpr_dispatch_ptr 0
		.amdhsa_user_sgpr_queue_ptr 0
		.amdhsa_user_sgpr_kernarg_segment_ptr 1
		.amdhsa_user_sgpr_dispatch_id 0
		.amdhsa_user_sgpr_private_segment_size 0
		.amdhsa_wavefront_size32 1
		.amdhsa_uses_dynamic_stack 0
		.amdhsa_enable_private_segment 0
		.amdhsa_system_sgpr_workgroup_id_x 1
		.amdhsa_system_sgpr_workgroup_id_y 0
		.amdhsa_system_sgpr_workgroup_id_z 0
		.amdhsa_system_sgpr_workgroup_info 0
		.amdhsa_system_vgpr_workitem_id 0
		.amdhsa_next_free_vgpr 12
		.amdhsa_next_free_sgpr 16
		.amdhsa_reserve_vcc 1
		.amdhsa_float_round_mode_32 0
		.amdhsa_float_round_mode_16_64 0
		.amdhsa_float_denorm_mode_32 3
		.amdhsa_float_denorm_mode_16_64 3
		.amdhsa_dx10_clamp 1
		.amdhsa_ieee_mode 1
		.amdhsa_fp16_overflow 0
		.amdhsa_workgroup_processor_mode 1
		.amdhsa_memory_ordered 1
		.amdhsa_forward_progress 0
		.amdhsa_shared_vgpr_count 0
		.amdhsa_exception_fp_ieee_invalid_op 0
		.amdhsa_exception_fp_denorm_src 0
		.amdhsa_exception_fp_ieee_div_zero 0
		.amdhsa_exception_fp_ieee_overflow 0
		.amdhsa_exception_fp_ieee_underflow 0
		.amdhsa_exception_fp_ieee_inexact 0
		.amdhsa_exception_int_div_zero 0
	.end_amdhsa_kernel
	.section	.text._Z6kernelI14inclusive_scanN6common11custom_typeIidLb0EEELj15ELj100EEvPKT0_PS4_S4_,"axG",@progbits,_Z6kernelI14inclusive_scanN6common11custom_typeIidLb0EEELj15ELj100EEvPKT0_PS4_S4_,comdat
.Lfunc_end47:
	.size	_Z6kernelI14inclusive_scanN6common11custom_typeIidLb0EEELj15ELj100EEvPKT0_PS4_S4_, .Lfunc_end47-_Z6kernelI14inclusive_scanN6common11custom_typeIidLb0EEELj15ELj100EEvPKT0_PS4_S4_
                                        ; -- End function
	.section	.AMDGPU.csdata,"",@progbits
; Kernel info:
; codeLenInByte = 580
; NumSgprs: 18
; NumVgprs: 12
; ScratchSize: 0
; MemoryBound: 0
; FloatMode: 240
; IeeeMode: 1
; LDSByteSize: 240 bytes/workgroup (compile time only)
; SGPRBlocks: 2
; VGPRBlocks: 1
; NumSGPRsForWavesPerEU: 18
; NumVGPRsForWavesPerEU: 12
; Occupancy: 16
; WaveLimiterHint : 0
; COMPUTE_PGM_RSRC2:SCRATCH_EN: 0
; COMPUTE_PGM_RSRC2:USER_SGPR: 15
; COMPUTE_PGM_RSRC2:TRAP_HANDLER: 0
; COMPUTE_PGM_RSRC2:TGID_X_EN: 1
; COMPUTE_PGM_RSRC2:TGID_Y_EN: 0
; COMPUTE_PGM_RSRC2:TGID_Z_EN: 0
; COMPUTE_PGM_RSRC2:TIDIG_COMP_CNT: 0
	.section	.text._Z6kernelI14inclusive_scannLj64ELj100EEvPKT0_PS1_S1_,"axG",@progbits,_Z6kernelI14inclusive_scannLj64ELj100EEvPKT0_PS1_S1_,comdat
	.protected	_Z6kernelI14inclusive_scannLj64ELj100EEvPKT0_PS1_S1_ ; -- Begin function _Z6kernelI14inclusive_scannLj64ELj100EEvPKT0_PS1_S1_
	.globl	_Z6kernelI14inclusive_scannLj64ELj100EEvPKT0_PS1_S1_
	.p2align	8
	.type	_Z6kernelI14inclusive_scannLj64ELj100EEvPKT0_PS1_S1_,@function
_Z6kernelI14inclusive_scannLj64ELj100EEvPKT0_PS1_S1_: ; @_Z6kernelI14inclusive_scannLj64ELj100EEvPKT0_PS1_S1_
; %bb.0:
	s_clause 0x1
	s_load_b32 s4, s[0:1], 0x2c
	s_load_b128 s[0:3], s[0:1], 0x0
	s_waitcnt lgkmcnt(0)
	s_and_b32 s4, s4, 0xffff
	s_delay_alu instid0(SALU_CYCLE_1) | instskip(SKIP_1) | instid1(VALU_DEP_1)
	v_mad_u64_u32 v[1:2], null, s15, s4, v[0:1]
	v_mov_b32_e32 v2, 0
	v_lshlrev_b64 v[4:5], 4, v[1:2]
	s_delay_alu instid0(VALU_DEP_1) | instskip(NEXT) | instid1(VALU_DEP_2)
	v_add_co_u32 v0, vcc_lo, s0, v4
	v_add_co_ci_u32_e32 v1, vcc_lo, s1, v5, vcc_lo
	v_add_co_u32 v4, vcc_lo, s2, v4
	v_add_co_ci_u32_e32 v5, vcc_lo, s3, v5, vcc_lo
	global_load_b128 v[0:3], v[0:1], off
	s_waitcnt vmcnt(0)
	global_store_b128 v[4:5], v[0:3], off
	s_nop 0
	s_sendmsg sendmsg(MSG_DEALLOC_VGPRS)
	s_endpgm
	.section	.rodata,"a",@progbits
	.p2align	6, 0x0
	.amdhsa_kernel _Z6kernelI14inclusive_scannLj64ELj100EEvPKT0_PS1_S1_
		.amdhsa_group_segment_fixed_size 0
		.amdhsa_private_segment_fixed_size 0
		.amdhsa_kernarg_size 288
		.amdhsa_user_sgpr_count 15
		.amdhsa_user_sgpr_dispatch_ptr 0
		.amdhsa_user_sgpr_queue_ptr 0
		.amdhsa_user_sgpr_kernarg_segment_ptr 1
		.amdhsa_user_sgpr_dispatch_id 0
		.amdhsa_user_sgpr_private_segment_size 0
		.amdhsa_wavefront_size32 1
		.amdhsa_uses_dynamic_stack 0
		.amdhsa_enable_private_segment 0
		.amdhsa_system_sgpr_workgroup_id_x 1
		.amdhsa_system_sgpr_workgroup_id_y 0
		.amdhsa_system_sgpr_workgroup_id_z 0
		.amdhsa_system_sgpr_workgroup_info 0
		.amdhsa_system_vgpr_workitem_id 0
		.amdhsa_next_free_vgpr 6
		.amdhsa_next_free_sgpr 16
		.amdhsa_reserve_vcc 1
		.amdhsa_float_round_mode_32 0
		.amdhsa_float_round_mode_16_64 0
		.amdhsa_float_denorm_mode_32 3
		.amdhsa_float_denorm_mode_16_64 3
		.amdhsa_dx10_clamp 1
		.amdhsa_ieee_mode 1
		.amdhsa_fp16_overflow 0
		.amdhsa_workgroup_processor_mode 1
		.amdhsa_memory_ordered 1
		.amdhsa_forward_progress 0
		.amdhsa_shared_vgpr_count 0
		.amdhsa_exception_fp_ieee_invalid_op 0
		.amdhsa_exception_fp_denorm_src 0
		.amdhsa_exception_fp_ieee_div_zero 0
		.amdhsa_exception_fp_ieee_overflow 0
		.amdhsa_exception_fp_ieee_underflow 0
		.amdhsa_exception_fp_ieee_inexact 0
		.amdhsa_exception_int_div_zero 0
	.end_amdhsa_kernel
	.section	.text._Z6kernelI14inclusive_scannLj64ELj100EEvPKT0_PS1_S1_,"axG",@progbits,_Z6kernelI14inclusive_scannLj64ELj100EEvPKT0_PS1_S1_,comdat
.Lfunc_end48:
	.size	_Z6kernelI14inclusive_scannLj64ELj100EEvPKT0_PS1_S1_, .Lfunc_end48-_Z6kernelI14inclusive_scannLj64ELj100EEvPKT0_PS1_S1_
                                        ; -- End function
	.section	.AMDGPU.csdata,"",@progbits
; Kernel info:
; codeLenInByte = 116
; NumSgprs: 18
; NumVgprs: 6
; ScratchSize: 0
; MemoryBound: 0
; FloatMode: 240
; IeeeMode: 1
; LDSByteSize: 0 bytes/workgroup (compile time only)
; SGPRBlocks: 2
; VGPRBlocks: 0
; NumSGPRsForWavesPerEU: 18
; NumVGPRsForWavesPerEU: 6
; Occupancy: 16
; WaveLimiterHint : 0
; COMPUTE_PGM_RSRC2:SCRATCH_EN: 0
; COMPUTE_PGM_RSRC2:USER_SGPR: 15
; COMPUTE_PGM_RSRC2:TRAP_HANDLER: 0
; COMPUTE_PGM_RSRC2:TGID_X_EN: 1
; COMPUTE_PGM_RSRC2:TGID_Y_EN: 0
; COMPUTE_PGM_RSRC2:TGID_Z_EN: 0
; COMPUTE_PGM_RSRC2:TIDIG_COMP_CNT: 0
	.section	.text._Z6kernelI14inclusive_scannLj32ELj100EEvPKT0_PS1_S1_,"axG",@progbits,_Z6kernelI14inclusive_scannLj32ELj100EEvPKT0_PS1_S1_,comdat
	.protected	_Z6kernelI14inclusive_scannLj32ELj100EEvPKT0_PS1_S1_ ; -- Begin function _Z6kernelI14inclusive_scannLj32ELj100EEvPKT0_PS1_S1_
	.globl	_Z6kernelI14inclusive_scannLj32ELj100EEvPKT0_PS1_S1_
	.p2align	8
	.type	_Z6kernelI14inclusive_scannLj32ELj100EEvPKT0_PS1_S1_,@function
_Z6kernelI14inclusive_scannLj32ELj100EEvPKT0_PS1_S1_: ; @_Z6kernelI14inclusive_scannLj32ELj100EEvPKT0_PS1_S1_
; %bb.0:
	s_clause 0x1
	s_load_b32 s2, s[0:1], 0x2c
	s_load_b128 s[4:7], s[0:1], 0x0
	v_mbcnt_lo_u32_b32 v6, -1, 0
	s_delay_alu instid0(VALU_DEP_1) | instskip(SKIP_1) | instid1(VALU_DEP_2)
	v_and_b32_e32 v7, 15, v6
	v_and_b32_e32 v6, 16, v6
	v_cmp_lt_u32_e64 s1, 1, v7
	v_cmp_lt_u32_e64 s3, 7, v7
	s_waitcnt lgkmcnt(0)
	s_and_b32 s0, s2, 0xffff
	v_cmp_lt_u32_e64 s2, 3, v7
	v_mad_u64_u32 v[1:2], null, s15, s0, v[0:1]
	v_mov_b32_e32 v2, 0
	v_cmp_ne_u32_e64 s0, 0, v7
	s_delay_alu instid0(VALU_DEP_2) | instskip(NEXT) | instid1(VALU_DEP_1)
	v_lshlrev_b64 v[4:5], 4, v[1:2]
	v_add_co_u32 v0, vcc_lo, s4, v4
	s_delay_alu instid0(VALU_DEP_2)
	v_add_co_ci_u32_e32 v1, vcc_lo, s5, v5, vcc_lo
	v_cmp_ne_u32_e64 s4, 0, v6
	s_movk_i32 s5, 0x64
	global_load_b128 v[0:3], v[0:1], off
	s_branch .LBB49_2
.LBB49_1:                               ;   in Loop: Header=BB49_2 Depth=1
	s_or_b32 exec_lo, exec_lo, s8
	s_add_i32 s5, s5, -1
	s_delay_alu instid0(SALU_CYCLE_1)
	s_cmp_lg_u32 s5, 0
	s_cbranch_scc0 .LBB49_12
.LBB49_2:                               ; =>This Inner Loop Header: Depth=1
	s_waitcnt vmcnt(0)
	v_mov_b32_dpp v11, v0 row_shr:1 row_mask:0xf bank_mask:0xf
	v_mov_b32_dpp v10, v1 row_shr:1 row_mask:0xf bank_mask:0xf
	s_waitcnt lgkmcnt(3)
	v_mov_b32_dpp v9, v2 row_shr:1 row_mask:0xf bank_mask:0xf
	s_waitcnt lgkmcnt(2)
	;; [unrolled: 2-line block ×3, first 2 shown]
	v_dual_mov_b32 v7, v2 :: v_dual_mov_b32 v6, v0
	s_and_saveexec_b32 s8, s0
	s_cbranch_execz .LBB49_4
; %bb.3:                                ;   in Loop: Header=BB49_2 Depth=1
	v_add_co_u32 v6, vcc_lo, v0, v11
	v_add_co_ci_u32_e32 v1, vcc_lo, 0, v1, vcc_lo
	v_add_co_ci_u32_e32 v2, vcc_lo, 0, v2, vcc_lo
	;; [unrolled: 1-line block ×3, first 2 shown]
	s_delay_alu instid0(VALU_DEP_4) | instskip(NEXT) | instid1(VALU_DEP_4)
	v_add_co_u32 v0, vcc_lo, 0, v6
	v_add_co_ci_u32_e32 v1, vcc_lo, v10, v1, vcc_lo
	s_delay_alu instid0(VALU_DEP_4) | instskip(NEXT) | instid1(VALU_DEP_4)
	v_add_co_ci_u32_e32 v2, vcc_lo, 0, v2, vcc_lo
	v_add_co_ci_u32_e32 v3, vcc_lo, 0, v3, vcc_lo
	s_delay_alu instid0(VALU_DEP_2) | instskip(NEXT) | instid1(VALU_DEP_2)
	v_add_co_u32 v7, vcc_lo, v2, v9
	v_add_co_ci_u32_e32 v3, vcc_lo, 0, v3, vcc_lo
	s_delay_alu instid0(VALU_DEP_2) | instskip(NEXT) | instid1(VALU_DEP_2)
	v_add_co_u32 v2, vcc_lo, v7, 0
	v_add_co_ci_u32_e32 v3, vcc_lo, v3, v8, vcc_lo
.LBB49_4:                               ;   in Loop: Header=BB49_2 Depth=1
	s_or_b32 exec_lo, exec_lo, s8
	s_delay_alu instid0(VALU_DEP_1)
	v_mov_b32_dpp v11, v6 row_shr:2 row_mask:0xf bank_mask:0xf
	v_mov_b32_dpp v10, v1 row_shr:2 row_mask:0xf bank_mask:0xf
	;; [unrolled: 1-line block ×4, first 2 shown]
	s_and_saveexec_b32 s8, s1
	s_cbranch_execz .LBB49_6
; %bb.5:                                ;   in Loop: Header=BB49_2 Depth=1
	v_add_co_u32 v6, vcc_lo, v0, v11
	v_add_co_ci_u32_e32 v1, vcc_lo, 0, v1, vcc_lo
	v_add_co_ci_u32_e32 v2, vcc_lo, 0, v2, vcc_lo
	;; [unrolled: 1-line block ×3, first 2 shown]
	s_delay_alu instid0(VALU_DEP_4) | instskip(NEXT) | instid1(VALU_DEP_4)
	v_add_co_u32 v0, vcc_lo, 0, v6
	v_add_co_ci_u32_e32 v1, vcc_lo, v10, v1, vcc_lo
	s_delay_alu instid0(VALU_DEP_4) | instskip(NEXT) | instid1(VALU_DEP_4)
	v_add_co_ci_u32_e32 v2, vcc_lo, 0, v2, vcc_lo
	v_add_co_ci_u32_e32 v3, vcc_lo, 0, v3, vcc_lo
	s_delay_alu instid0(VALU_DEP_2) | instskip(NEXT) | instid1(VALU_DEP_2)
	v_add_co_u32 v7, vcc_lo, v2, v9
	v_add_co_ci_u32_e32 v3, vcc_lo, 0, v3, vcc_lo
	s_delay_alu instid0(VALU_DEP_2) | instskip(NEXT) | instid1(VALU_DEP_2)
	v_add_co_u32 v2, vcc_lo, v7, 0
	v_add_co_ci_u32_e32 v3, vcc_lo, v3, v8, vcc_lo
.LBB49_6:                               ;   in Loop: Header=BB49_2 Depth=1
	s_or_b32 exec_lo, exec_lo, s8
	v_mov_b32_dpp v11, v6 row_shr:4 row_mask:0xf bank_mask:0xf
	v_mov_b32_dpp v10, v1 row_shr:4 row_mask:0xf bank_mask:0xf
	;; [unrolled: 1-line block ×4, first 2 shown]
	s_and_saveexec_b32 s8, s2
	s_cbranch_execz .LBB49_8
; %bb.7:                                ;   in Loop: Header=BB49_2 Depth=1
	v_add_co_u32 v6, vcc_lo, v0, v11
	v_add_co_ci_u32_e32 v1, vcc_lo, 0, v1, vcc_lo
	v_add_co_ci_u32_e32 v2, vcc_lo, 0, v2, vcc_lo
	v_add_co_ci_u32_e32 v3, vcc_lo, 0, v3, vcc_lo
	s_delay_alu instid0(VALU_DEP_4) | instskip(NEXT) | instid1(VALU_DEP_4)
	v_add_co_u32 v0, vcc_lo, 0, v6
	v_add_co_ci_u32_e32 v1, vcc_lo, v10, v1, vcc_lo
	s_delay_alu instid0(VALU_DEP_4) | instskip(NEXT) | instid1(VALU_DEP_4)
	v_add_co_ci_u32_e32 v2, vcc_lo, 0, v2, vcc_lo
	v_add_co_ci_u32_e32 v3, vcc_lo, 0, v3, vcc_lo
	s_delay_alu instid0(VALU_DEP_2) | instskip(NEXT) | instid1(VALU_DEP_2)
	v_add_co_u32 v7, vcc_lo, v2, v9
	v_add_co_ci_u32_e32 v3, vcc_lo, 0, v3, vcc_lo
	s_delay_alu instid0(VALU_DEP_2) | instskip(NEXT) | instid1(VALU_DEP_2)
	v_add_co_u32 v2, vcc_lo, v7, 0
	v_add_co_ci_u32_e32 v3, vcc_lo, v3, v8, vcc_lo
.LBB49_8:                               ;   in Loop: Header=BB49_2 Depth=1
	s_or_b32 exec_lo, exec_lo, s8
	v_mov_b32_dpp v11, v6 row_shr:8 row_mask:0xf bank_mask:0xf
	v_mov_b32_dpp v10, v1 row_shr:8 row_mask:0xf bank_mask:0xf
	;; [unrolled: 1-line block ×4, first 2 shown]
	s_and_saveexec_b32 s8, s3
	s_cbranch_execz .LBB49_10
; %bb.9:                                ;   in Loop: Header=BB49_2 Depth=1
	v_add_co_u32 v6, vcc_lo, v0, v11
	v_add_co_ci_u32_e32 v1, vcc_lo, 0, v1, vcc_lo
	v_add_co_ci_u32_e32 v2, vcc_lo, 0, v2, vcc_lo
	;; [unrolled: 1-line block ×3, first 2 shown]
	s_delay_alu instid0(VALU_DEP_4) | instskip(NEXT) | instid1(VALU_DEP_4)
	v_add_co_u32 v0, vcc_lo, 0, v6
	v_add_co_ci_u32_e32 v1, vcc_lo, v10, v1, vcc_lo
	s_delay_alu instid0(VALU_DEP_4) | instskip(NEXT) | instid1(VALU_DEP_4)
	v_add_co_ci_u32_e32 v2, vcc_lo, 0, v2, vcc_lo
	v_add_co_ci_u32_e32 v3, vcc_lo, 0, v3, vcc_lo
	s_delay_alu instid0(VALU_DEP_2) | instskip(NEXT) | instid1(VALU_DEP_2)
	v_add_co_u32 v7, vcc_lo, v2, v9
	v_add_co_ci_u32_e32 v3, vcc_lo, 0, v3, vcc_lo
	s_delay_alu instid0(VALU_DEP_2) | instskip(NEXT) | instid1(VALU_DEP_2)
	v_add_co_u32 v2, vcc_lo, v7, 0
	v_add_co_ci_u32_e32 v3, vcc_lo, v3, v8, vcc_lo
.LBB49_10:                              ;   in Loop: Header=BB49_2 Depth=1
	s_or_b32 exec_lo, exec_lo, s8
	ds_swizzle_b32 v9, v6 offset:swizzle(BROADCAST,32,15)
	ds_swizzle_b32 v8, v1 offset:swizzle(BROADCAST,32,15)
	;; [unrolled: 1-line block ×4, first 2 shown]
	s_and_saveexec_b32 s8, s4
	s_cbranch_execz .LBB49_1
; %bb.11:                               ;   in Loop: Header=BB49_2 Depth=1
	s_waitcnt lgkmcnt(3)
	v_add_co_u32 v0, vcc_lo, v0, v9
	v_add_co_ci_u32_e32 v1, vcc_lo, 0, v1, vcc_lo
	v_add_co_ci_u32_e32 v2, vcc_lo, 0, v2, vcc_lo
	;; [unrolled: 1-line block ×3, first 2 shown]
	s_delay_alu instid0(VALU_DEP_4)
	v_add_co_u32 v0, vcc_lo, v0, 0
	s_waitcnt lgkmcnt(2)
	v_add_co_ci_u32_e32 v1, vcc_lo, v1, v8, vcc_lo
	v_add_co_ci_u32_e32 v2, vcc_lo, 0, v2, vcc_lo
	;; [unrolled: 1-line block ×3, first 2 shown]
	s_waitcnt lgkmcnt(1)
	s_delay_alu instid0(VALU_DEP_2) | instskip(NEXT) | instid1(VALU_DEP_2)
	v_add_co_u32 v2, vcc_lo, v2, v7
	v_add_co_ci_u32_e32 v3, vcc_lo, 0, v3, vcc_lo
	s_delay_alu instid0(VALU_DEP_2) | instskip(SKIP_1) | instid1(VALU_DEP_2)
	v_add_co_u32 v2, vcc_lo, v2, 0
	s_waitcnt lgkmcnt(0)
	v_add_co_ci_u32_e32 v3, vcc_lo, v3, v6, vcc_lo
	s_branch .LBB49_1
.LBB49_12:
	v_add_co_u32 v4, vcc_lo, s6, v4
	v_add_co_ci_u32_e32 v5, vcc_lo, s7, v5, vcc_lo
	global_store_b128 v[4:5], v[0:3], off
	s_nop 0
	s_sendmsg sendmsg(MSG_DEALLOC_VGPRS)
	s_endpgm
	.section	.rodata,"a",@progbits
	.p2align	6, 0x0
	.amdhsa_kernel _Z6kernelI14inclusive_scannLj32ELj100EEvPKT0_PS1_S1_
		.amdhsa_group_segment_fixed_size 0
		.amdhsa_private_segment_fixed_size 0
		.amdhsa_kernarg_size 288
		.amdhsa_user_sgpr_count 15
		.amdhsa_user_sgpr_dispatch_ptr 0
		.amdhsa_user_sgpr_queue_ptr 0
		.amdhsa_user_sgpr_kernarg_segment_ptr 1
		.amdhsa_user_sgpr_dispatch_id 0
		.amdhsa_user_sgpr_private_segment_size 0
		.amdhsa_wavefront_size32 1
		.amdhsa_uses_dynamic_stack 0
		.amdhsa_enable_private_segment 0
		.amdhsa_system_sgpr_workgroup_id_x 1
		.amdhsa_system_sgpr_workgroup_id_y 0
		.amdhsa_system_sgpr_workgroup_id_z 0
		.amdhsa_system_sgpr_workgroup_info 0
		.amdhsa_system_vgpr_workitem_id 0
		.amdhsa_next_free_vgpr 12
		.amdhsa_next_free_sgpr 16
		.amdhsa_reserve_vcc 1
		.amdhsa_float_round_mode_32 0
		.amdhsa_float_round_mode_16_64 0
		.amdhsa_float_denorm_mode_32 3
		.amdhsa_float_denorm_mode_16_64 3
		.amdhsa_dx10_clamp 1
		.amdhsa_ieee_mode 1
		.amdhsa_fp16_overflow 0
		.amdhsa_workgroup_processor_mode 1
		.amdhsa_memory_ordered 1
		.amdhsa_forward_progress 0
		.amdhsa_shared_vgpr_count 0
		.amdhsa_exception_fp_ieee_invalid_op 0
		.amdhsa_exception_fp_denorm_src 0
		.amdhsa_exception_fp_ieee_div_zero 0
		.amdhsa_exception_fp_ieee_overflow 0
		.amdhsa_exception_fp_ieee_underflow 0
		.amdhsa_exception_fp_ieee_inexact 0
		.amdhsa_exception_int_div_zero 0
	.end_amdhsa_kernel
	.section	.text._Z6kernelI14inclusive_scannLj32ELj100EEvPKT0_PS1_S1_,"axG",@progbits,_Z6kernelI14inclusive_scannLj32ELj100EEvPKT0_PS1_S1_,comdat
.Lfunc_end49:
	.size	_Z6kernelI14inclusive_scannLj32ELj100EEvPKT0_PS1_S1_, .Lfunc_end49-_Z6kernelI14inclusive_scannLj32ELj100EEvPKT0_PS1_S1_
                                        ; -- End function
	.section	.AMDGPU.csdata,"",@progbits
; Kernel info:
; codeLenInByte = 860
; NumSgprs: 18
; NumVgprs: 12
; ScratchSize: 0
; MemoryBound: 0
; FloatMode: 240
; IeeeMode: 1
; LDSByteSize: 0 bytes/workgroup (compile time only)
; SGPRBlocks: 2
; VGPRBlocks: 1
; NumSGPRsForWavesPerEU: 18
; NumVGPRsForWavesPerEU: 12
; Occupancy: 16
; WaveLimiterHint : 0
; COMPUTE_PGM_RSRC2:SCRATCH_EN: 0
; COMPUTE_PGM_RSRC2:USER_SGPR: 15
; COMPUTE_PGM_RSRC2:TRAP_HANDLER: 0
; COMPUTE_PGM_RSRC2:TGID_X_EN: 1
; COMPUTE_PGM_RSRC2:TGID_Y_EN: 0
; COMPUTE_PGM_RSRC2:TGID_Z_EN: 0
; COMPUTE_PGM_RSRC2:TIDIG_COMP_CNT: 0
	.section	.text._Z6kernelI14inclusive_scannLj16ELj100EEvPKT0_PS1_S1_,"axG",@progbits,_Z6kernelI14inclusive_scannLj16ELj100EEvPKT0_PS1_S1_,comdat
	.protected	_Z6kernelI14inclusive_scannLj16ELj100EEvPKT0_PS1_S1_ ; -- Begin function _Z6kernelI14inclusive_scannLj16ELj100EEvPKT0_PS1_S1_
	.globl	_Z6kernelI14inclusive_scannLj16ELj100EEvPKT0_PS1_S1_
	.p2align	8
	.type	_Z6kernelI14inclusive_scannLj16ELj100EEvPKT0_PS1_S1_,@function
_Z6kernelI14inclusive_scannLj16ELj100EEvPKT0_PS1_S1_: ; @_Z6kernelI14inclusive_scannLj16ELj100EEvPKT0_PS1_S1_
; %bb.0:
	s_clause 0x1
	s_load_b32 s2, s[0:1], 0x2c
	s_load_b128 s[4:7], s[0:1], 0x0
	v_mbcnt_lo_u32_b32 v6, -1, 0
	s_delay_alu instid0(VALU_DEP_1) | instskip(NEXT) | instid1(VALU_DEP_1)
	v_and_b32_e32 v6, 15, v6
	v_cmp_lt_u32_e64 s1, 1, v6
	v_cmp_lt_u32_e64 s3, 7, v6
	s_waitcnt lgkmcnt(0)
	s_and_b32 s0, s2, 0xffff
	v_cmp_lt_u32_e64 s2, 3, v6
	v_mad_u64_u32 v[1:2], null, s15, s0, v[0:1]
	v_mov_b32_e32 v2, 0
	v_cmp_ne_u32_e64 s0, 0, v6
	s_delay_alu instid0(VALU_DEP_2) | instskip(NEXT) | instid1(VALU_DEP_1)
	v_lshlrev_b64 v[4:5], 4, v[1:2]
	v_add_co_u32 v0, vcc_lo, s4, v4
	s_delay_alu instid0(VALU_DEP_2)
	v_add_co_ci_u32_e32 v1, vcc_lo, s5, v5, vcc_lo
	s_movk_i32 s4, 0x64
	global_load_b128 v[0:3], v[0:1], off
	s_branch .LBB50_2
.LBB50_1:                               ;   in Loop: Header=BB50_2 Depth=1
	s_or_b32 exec_lo, exec_lo, s5
	s_add_i32 s4, s4, -1
	s_delay_alu instid0(SALU_CYCLE_1)
	s_cmp_lg_u32 s4, 0
	s_cbranch_scc0 .LBB50_10
.LBB50_2:                               ; =>This Inner Loop Header: Depth=1
	s_waitcnt vmcnt(0)
	v_mov_b32_dpp v11, v0 row_shr:1 row_mask:0xf bank_mask:0xf
	v_mov_b32_dpp v10, v1 row_shr:1 row_mask:0xf bank_mask:0xf
	;; [unrolled: 1-line block ×4, first 2 shown]
	v_dual_mov_b32 v7, v2 :: v_dual_mov_b32 v6, v0
	s_and_saveexec_b32 s5, s0
	s_cbranch_execz .LBB50_4
; %bb.3:                                ;   in Loop: Header=BB50_2 Depth=1
	v_add_co_u32 v6, vcc_lo, v0, v11
	v_add_co_ci_u32_e32 v1, vcc_lo, 0, v1, vcc_lo
	v_add_co_ci_u32_e32 v2, vcc_lo, 0, v2, vcc_lo
	;; [unrolled: 1-line block ×3, first 2 shown]
	s_delay_alu instid0(VALU_DEP_4) | instskip(NEXT) | instid1(VALU_DEP_4)
	v_add_co_u32 v0, vcc_lo, 0, v6
	v_add_co_ci_u32_e32 v1, vcc_lo, v10, v1, vcc_lo
	s_delay_alu instid0(VALU_DEP_4) | instskip(NEXT) | instid1(VALU_DEP_4)
	v_add_co_ci_u32_e32 v2, vcc_lo, 0, v2, vcc_lo
	v_add_co_ci_u32_e32 v3, vcc_lo, 0, v3, vcc_lo
	s_delay_alu instid0(VALU_DEP_2) | instskip(NEXT) | instid1(VALU_DEP_2)
	v_add_co_u32 v7, vcc_lo, v2, v9
	v_add_co_ci_u32_e32 v3, vcc_lo, 0, v3, vcc_lo
	s_delay_alu instid0(VALU_DEP_2) | instskip(NEXT) | instid1(VALU_DEP_2)
	v_add_co_u32 v2, vcc_lo, v7, 0
	v_add_co_ci_u32_e32 v3, vcc_lo, v3, v8, vcc_lo
.LBB50_4:                               ;   in Loop: Header=BB50_2 Depth=1
	s_or_b32 exec_lo, exec_lo, s5
	s_delay_alu instid0(VALU_DEP_1)
	v_mov_b32_dpp v11, v6 row_shr:2 row_mask:0xf bank_mask:0xf
	v_mov_b32_dpp v10, v1 row_shr:2 row_mask:0xf bank_mask:0xf
	;; [unrolled: 1-line block ×4, first 2 shown]
	s_and_saveexec_b32 s5, s1
	s_cbranch_execz .LBB50_6
; %bb.5:                                ;   in Loop: Header=BB50_2 Depth=1
	v_add_co_u32 v6, vcc_lo, v0, v11
	v_add_co_ci_u32_e32 v1, vcc_lo, 0, v1, vcc_lo
	v_add_co_ci_u32_e32 v2, vcc_lo, 0, v2, vcc_lo
	;; [unrolled: 1-line block ×3, first 2 shown]
	s_delay_alu instid0(VALU_DEP_4) | instskip(NEXT) | instid1(VALU_DEP_4)
	v_add_co_u32 v0, vcc_lo, 0, v6
	v_add_co_ci_u32_e32 v1, vcc_lo, v10, v1, vcc_lo
	s_delay_alu instid0(VALU_DEP_4) | instskip(NEXT) | instid1(VALU_DEP_4)
	v_add_co_ci_u32_e32 v2, vcc_lo, 0, v2, vcc_lo
	v_add_co_ci_u32_e32 v3, vcc_lo, 0, v3, vcc_lo
	s_delay_alu instid0(VALU_DEP_2) | instskip(NEXT) | instid1(VALU_DEP_2)
	v_add_co_u32 v7, vcc_lo, v2, v9
	v_add_co_ci_u32_e32 v3, vcc_lo, 0, v3, vcc_lo
	s_delay_alu instid0(VALU_DEP_2) | instskip(NEXT) | instid1(VALU_DEP_2)
	v_add_co_u32 v2, vcc_lo, v7, 0
	v_add_co_ci_u32_e32 v3, vcc_lo, v3, v8, vcc_lo
.LBB50_6:                               ;   in Loop: Header=BB50_2 Depth=1
	s_or_b32 exec_lo, exec_lo, s5
	v_mov_b32_dpp v11, v6 row_shr:4 row_mask:0xf bank_mask:0xf
	v_mov_b32_dpp v10, v1 row_shr:4 row_mask:0xf bank_mask:0xf
	;; [unrolled: 1-line block ×4, first 2 shown]
	s_and_saveexec_b32 s5, s2
	s_cbranch_execz .LBB50_8
; %bb.7:                                ;   in Loop: Header=BB50_2 Depth=1
	v_add_co_u32 v6, vcc_lo, v0, v11
	v_add_co_ci_u32_e32 v1, vcc_lo, 0, v1, vcc_lo
	v_add_co_ci_u32_e32 v2, vcc_lo, 0, v2, vcc_lo
	;; [unrolled: 1-line block ×3, first 2 shown]
	s_delay_alu instid0(VALU_DEP_4) | instskip(NEXT) | instid1(VALU_DEP_4)
	v_add_co_u32 v0, vcc_lo, 0, v6
	v_add_co_ci_u32_e32 v1, vcc_lo, v10, v1, vcc_lo
	s_delay_alu instid0(VALU_DEP_4) | instskip(NEXT) | instid1(VALU_DEP_4)
	v_add_co_ci_u32_e32 v2, vcc_lo, 0, v2, vcc_lo
	v_add_co_ci_u32_e32 v3, vcc_lo, 0, v3, vcc_lo
	s_delay_alu instid0(VALU_DEP_2) | instskip(NEXT) | instid1(VALU_DEP_2)
	v_add_co_u32 v7, vcc_lo, v2, v9
	v_add_co_ci_u32_e32 v3, vcc_lo, 0, v3, vcc_lo
	s_delay_alu instid0(VALU_DEP_2) | instskip(NEXT) | instid1(VALU_DEP_2)
	v_add_co_u32 v2, vcc_lo, v7, 0
	v_add_co_ci_u32_e32 v3, vcc_lo, v3, v8, vcc_lo
.LBB50_8:                               ;   in Loop: Header=BB50_2 Depth=1
	s_or_b32 exec_lo, exec_lo, s5
	v_mov_b32_dpp v9, v6 row_shr:8 row_mask:0xf bank_mask:0xf
	v_mov_b32_dpp v8, v1 row_shr:8 row_mask:0xf bank_mask:0xf
	;; [unrolled: 1-line block ×4, first 2 shown]
	s_and_saveexec_b32 s5, s3
	s_cbranch_execz .LBB50_1
; %bb.9:                                ;   in Loop: Header=BB50_2 Depth=1
	v_add_co_u32 v0, vcc_lo, v0, v9
	v_add_co_ci_u32_e32 v1, vcc_lo, 0, v1, vcc_lo
	v_add_co_ci_u32_e32 v2, vcc_lo, 0, v2, vcc_lo
	;; [unrolled: 1-line block ×3, first 2 shown]
	s_delay_alu instid0(VALU_DEP_4) | instskip(NEXT) | instid1(VALU_DEP_4)
	v_add_co_u32 v0, vcc_lo, v0, 0
	v_add_co_ci_u32_e32 v1, vcc_lo, v1, v8, vcc_lo
	s_delay_alu instid0(VALU_DEP_4) | instskip(NEXT) | instid1(VALU_DEP_4)
	v_add_co_ci_u32_e32 v2, vcc_lo, 0, v2, vcc_lo
	v_add_co_ci_u32_e32 v3, vcc_lo, 0, v3, vcc_lo
	s_delay_alu instid0(VALU_DEP_2) | instskip(NEXT) | instid1(VALU_DEP_2)
	v_add_co_u32 v2, vcc_lo, v2, v7
	v_add_co_ci_u32_e32 v3, vcc_lo, 0, v3, vcc_lo
	s_delay_alu instid0(VALU_DEP_2) | instskip(NEXT) | instid1(VALU_DEP_2)
	v_add_co_u32 v2, vcc_lo, v2, 0
	v_add_co_ci_u32_e32 v3, vcc_lo, v3, v6, vcc_lo
	s_branch .LBB50_1
.LBB50_10:
	v_add_co_u32 v4, vcc_lo, s6, v4
	v_add_co_ci_u32_e32 v5, vcc_lo, s7, v5, vcc_lo
	global_store_b128 v[4:5], v[0:3], off
	s_nop 0
	s_sendmsg sendmsg(MSG_DEALLOC_VGPRS)
	s_endpgm
	.section	.rodata,"a",@progbits
	.p2align	6, 0x0
	.amdhsa_kernel _Z6kernelI14inclusive_scannLj16ELj100EEvPKT0_PS1_S1_
		.amdhsa_group_segment_fixed_size 0
		.amdhsa_private_segment_fixed_size 0
		.amdhsa_kernarg_size 288
		.amdhsa_user_sgpr_count 15
		.amdhsa_user_sgpr_dispatch_ptr 0
		.amdhsa_user_sgpr_queue_ptr 0
		.amdhsa_user_sgpr_kernarg_segment_ptr 1
		.amdhsa_user_sgpr_dispatch_id 0
		.amdhsa_user_sgpr_private_segment_size 0
		.amdhsa_wavefront_size32 1
		.amdhsa_uses_dynamic_stack 0
		.amdhsa_enable_private_segment 0
		.amdhsa_system_sgpr_workgroup_id_x 1
		.amdhsa_system_sgpr_workgroup_id_y 0
		.amdhsa_system_sgpr_workgroup_id_z 0
		.amdhsa_system_sgpr_workgroup_info 0
		.amdhsa_system_vgpr_workitem_id 0
		.amdhsa_next_free_vgpr 12
		.amdhsa_next_free_sgpr 16
		.amdhsa_reserve_vcc 1
		.amdhsa_float_round_mode_32 0
		.amdhsa_float_round_mode_16_64 0
		.amdhsa_float_denorm_mode_32 3
		.amdhsa_float_denorm_mode_16_64 3
		.amdhsa_dx10_clamp 1
		.amdhsa_ieee_mode 1
		.amdhsa_fp16_overflow 0
		.amdhsa_workgroup_processor_mode 1
		.amdhsa_memory_ordered 1
		.amdhsa_forward_progress 0
		.amdhsa_shared_vgpr_count 0
		.amdhsa_exception_fp_ieee_invalid_op 0
		.amdhsa_exception_fp_denorm_src 0
		.amdhsa_exception_fp_ieee_div_zero 0
		.amdhsa_exception_fp_ieee_overflow 0
		.amdhsa_exception_fp_ieee_underflow 0
		.amdhsa_exception_fp_ieee_inexact 0
		.amdhsa_exception_int_div_zero 0
	.end_amdhsa_kernel
	.section	.text._Z6kernelI14inclusive_scannLj16ELj100EEvPKT0_PS1_S1_,"axG",@progbits,_Z6kernelI14inclusive_scannLj16ELj100EEvPKT0_PS1_S1_,comdat
.Lfunc_end50:
	.size	_Z6kernelI14inclusive_scannLj16ELj100EEvPKT0_PS1_S1_, .Lfunc_end50-_Z6kernelI14inclusive_scannLj16ELj100EEvPKT0_PS1_S1_
                                        ; -- End function
	.section	.AMDGPU.csdata,"",@progbits
; Kernel info:
; codeLenInByte = 700
; NumSgprs: 18
; NumVgprs: 12
; ScratchSize: 0
; MemoryBound: 0
; FloatMode: 240
; IeeeMode: 1
; LDSByteSize: 0 bytes/workgroup (compile time only)
; SGPRBlocks: 2
; VGPRBlocks: 1
; NumSGPRsForWavesPerEU: 18
; NumVGPRsForWavesPerEU: 12
; Occupancy: 16
; WaveLimiterHint : 0
; COMPUTE_PGM_RSRC2:SCRATCH_EN: 0
; COMPUTE_PGM_RSRC2:USER_SGPR: 15
; COMPUTE_PGM_RSRC2:TRAP_HANDLER: 0
; COMPUTE_PGM_RSRC2:TGID_X_EN: 1
; COMPUTE_PGM_RSRC2:TGID_Y_EN: 0
; COMPUTE_PGM_RSRC2:TGID_Z_EN: 0
; COMPUTE_PGM_RSRC2:TIDIG_COMP_CNT: 0
	.section	.text._Z6kernelI14inclusive_scannLj63ELj100EEvPKT0_PS1_S1_,"axG",@progbits,_Z6kernelI14inclusive_scannLj63ELj100EEvPKT0_PS1_S1_,comdat
	.protected	_Z6kernelI14inclusive_scannLj63ELj100EEvPKT0_PS1_S1_ ; -- Begin function _Z6kernelI14inclusive_scannLj63ELj100EEvPKT0_PS1_S1_
	.globl	_Z6kernelI14inclusive_scannLj63ELj100EEvPKT0_PS1_S1_
	.p2align	8
	.type	_Z6kernelI14inclusive_scannLj63ELj100EEvPKT0_PS1_S1_,@function
_Z6kernelI14inclusive_scannLj63ELj100EEvPKT0_PS1_S1_: ; @_Z6kernelI14inclusive_scannLj63ELj100EEvPKT0_PS1_S1_
; %bb.0:
	s_clause 0x1
	s_load_b32 s4, s[0:1], 0x2c
	s_load_b128 s[0:3], s[0:1], 0x0
	s_waitcnt lgkmcnt(0)
	s_and_b32 s4, s4, 0xffff
	s_delay_alu instid0(SALU_CYCLE_1) | instskip(SKIP_1) | instid1(VALU_DEP_1)
	v_mad_u64_u32 v[1:2], null, s15, s4, v[0:1]
	v_mov_b32_e32 v2, 0
	v_lshlrev_b64 v[4:5], 4, v[1:2]
	s_delay_alu instid0(VALU_DEP_1) | instskip(NEXT) | instid1(VALU_DEP_2)
	v_add_co_u32 v0, vcc_lo, s0, v4
	v_add_co_ci_u32_e32 v1, vcc_lo, s1, v5, vcc_lo
	v_add_co_u32 v4, vcc_lo, s2, v4
	v_add_co_ci_u32_e32 v5, vcc_lo, s3, v5, vcc_lo
	global_load_b128 v[0:3], v[0:1], off
	s_waitcnt vmcnt(0)
	global_store_b128 v[4:5], v[0:3], off
	s_nop 0
	s_sendmsg sendmsg(MSG_DEALLOC_VGPRS)
	s_endpgm
	.section	.rodata,"a",@progbits
	.p2align	6, 0x0
	.amdhsa_kernel _Z6kernelI14inclusive_scannLj63ELj100EEvPKT0_PS1_S1_
		.amdhsa_group_segment_fixed_size 0
		.amdhsa_private_segment_fixed_size 0
		.amdhsa_kernarg_size 288
		.amdhsa_user_sgpr_count 15
		.amdhsa_user_sgpr_dispatch_ptr 0
		.amdhsa_user_sgpr_queue_ptr 0
		.amdhsa_user_sgpr_kernarg_segment_ptr 1
		.amdhsa_user_sgpr_dispatch_id 0
		.amdhsa_user_sgpr_private_segment_size 0
		.amdhsa_wavefront_size32 1
		.amdhsa_uses_dynamic_stack 0
		.amdhsa_enable_private_segment 0
		.amdhsa_system_sgpr_workgroup_id_x 1
		.amdhsa_system_sgpr_workgroup_id_y 0
		.amdhsa_system_sgpr_workgroup_id_z 0
		.amdhsa_system_sgpr_workgroup_info 0
		.amdhsa_system_vgpr_workitem_id 0
		.amdhsa_next_free_vgpr 6
		.amdhsa_next_free_sgpr 16
		.amdhsa_reserve_vcc 1
		.amdhsa_float_round_mode_32 0
		.amdhsa_float_round_mode_16_64 0
		.amdhsa_float_denorm_mode_32 3
		.amdhsa_float_denorm_mode_16_64 3
		.amdhsa_dx10_clamp 1
		.amdhsa_ieee_mode 1
		.amdhsa_fp16_overflow 0
		.amdhsa_workgroup_processor_mode 1
		.amdhsa_memory_ordered 1
		.amdhsa_forward_progress 0
		.amdhsa_shared_vgpr_count 0
		.amdhsa_exception_fp_ieee_invalid_op 0
		.amdhsa_exception_fp_denorm_src 0
		.amdhsa_exception_fp_ieee_div_zero 0
		.amdhsa_exception_fp_ieee_overflow 0
		.amdhsa_exception_fp_ieee_underflow 0
		.amdhsa_exception_fp_ieee_inexact 0
		.amdhsa_exception_int_div_zero 0
	.end_amdhsa_kernel
	.section	.text._Z6kernelI14inclusive_scannLj63ELj100EEvPKT0_PS1_S1_,"axG",@progbits,_Z6kernelI14inclusive_scannLj63ELj100EEvPKT0_PS1_S1_,comdat
.Lfunc_end51:
	.size	_Z6kernelI14inclusive_scannLj63ELj100EEvPKT0_PS1_S1_, .Lfunc_end51-_Z6kernelI14inclusive_scannLj63ELj100EEvPKT0_PS1_S1_
                                        ; -- End function
	.section	.AMDGPU.csdata,"",@progbits
; Kernel info:
; codeLenInByte = 116
; NumSgprs: 18
; NumVgprs: 6
; ScratchSize: 0
; MemoryBound: 0
; FloatMode: 240
; IeeeMode: 1
; LDSByteSize: 0 bytes/workgroup (compile time only)
; SGPRBlocks: 2
; VGPRBlocks: 0
; NumSGPRsForWavesPerEU: 18
; NumVGPRsForWavesPerEU: 6
; Occupancy: 16
; WaveLimiterHint : 0
; COMPUTE_PGM_RSRC2:SCRATCH_EN: 0
; COMPUTE_PGM_RSRC2:USER_SGPR: 15
; COMPUTE_PGM_RSRC2:TRAP_HANDLER: 0
; COMPUTE_PGM_RSRC2:TGID_X_EN: 1
; COMPUTE_PGM_RSRC2:TGID_Y_EN: 0
; COMPUTE_PGM_RSRC2:TGID_Z_EN: 0
; COMPUTE_PGM_RSRC2:TIDIG_COMP_CNT: 0
	.section	.text._Z6kernelI14inclusive_scannLj31ELj100EEvPKT0_PS1_S1_,"axG",@progbits,_Z6kernelI14inclusive_scannLj31ELj100EEvPKT0_PS1_S1_,comdat
	.protected	_Z6kernelI14inclusive_scannLj31ELj100EEvPKT0_PS1_S1_ ; -- Begin function _Z6kernelI14inclusive_scannLj31ELj100EEvPKT0_PS1_S1_
	.globl	_Z6kernelI14inclusive_scannLj31ELj100EEvPKT0_PS1_S1_
	.p2align	8
	.type	_Z6kernelI14inclusive_scannLj31ELj100EEvPKT0_PS1_S1_,@function
_Z6kernelI14inclusive_scannLj31ELj100EEvPKT0_PS1_S1_: ; @_Z6kernelI14inclusive_scannLj31ELj100EEvPKT0_PS1_S1_
; %bb.0:
	s_clause 0x1
	s_load_b32 s2, s[0:1], 0x2c
	s_load_b128 s[4:7], s[0:1], 0x0
	v_mbcnt_lo_u32_b32 v6, -1, 0
	s_delay_alu instid0(VALU_DEP_1) | instskip(NEXT) | instid1(VALU_DEP_1)
	v_mul_hi_u32 v7, 0x8421085, v6
	v_mul_u32_u24_e32 v7, 31, v7
	s_delay_alu instid0(VALU_DEP_1) | instskip(SKIP_2) | instid1(SALU_CYCLE_1)
	v_sub_nc_u32_e32 v7, v6, v7
	s_waitcnt lgkmcnt(0)
	s_and_b32 s0, s2, 0xffff
	v_mad_u64_u32 v[1:2], null, s15, s0, v[0:1]
	s_delay_alu instid0(VALU_DEP_2)
	v_lshlrev_b32_e32 v6, 4, v7
	v_mov_b32_e32 v2, 0
	v_cmp_ne_u32_e64 s0, 0, v7
	v_cmp_lt_u32_e64 s1, 1, v7
	v_cmp_lt_u32_e64 s2, 3, v7
	;; [unrolled: 1-line block ×3, first 2 shown]
	v_lshlrev_b64 v[4:5], 4, v[1:2]
	v_subrev_nc_u32_e32 v8, 32, v6
	v_subrev_nc_u32_e32 v9, 64, v6
	v_add_nc_u32_e32 v10, 0xffffff80, v6
	v_add_nc_u32_e32 v11, 0xffffff00, v6
	v_add_co_u32 v0, vcc_lo, s4, v4
	v_add_co_ci_u32_e32 v1, vcc_lo, s5, v5, vcc_lo
	v_cmp_lt_u32_e64 s4, 15, v7
	v_add_nc_u32_e32 v7, -16, v6
	s_movk_i32 s5, 0x64
	global_load_b128 v[0:3], v[0:1], off
	s_branch .LBB52_2
.LBB52_1:                               ;   in Loop: Header=BB52_2 Depth=1
	s_or_b32 exec_lo, exec_lo, s8
	s_add_i32 s5, s5, -1
	s_delay_alu instid0(SALU_CYCLE_1)
	s_cmp_lg_u32 s5, 0
	; wave barrier
	s_cbranch_scc0 .LBB52_22
.LBB52_2:                               ; =>This Inner Loop Header: Depth=1
	s_waitcnt vmcnt(0)
	ds_store_b128 v6, v[0:3]
	; wave barrier
	s_and_saveexec_b32 s8, s0
	s_cbranch_execz .LBB52_4
; %bb.3:                                ;   in Loop: Header=BB52_2 Depth=1
	ds_load_b128 v[12:15], v7
	s_waitcnt lgkmcnt(0)
	v_add_co_u32 v0, vcc_lo, v12, v0
	v_add_co_ci_u32_e32 v1, vcc_lo, v13, v1, vcc_lo
	v_add_co_ci_u32_e32 v2, vcc_lo, v14, v2, vcc_lo
	;; [unrolled: 1-line block ×3, first 2 shown]
.LBB52_4:                               ;   in Loop: Header=BB52_2 Depth=1
	s_or_b32 exec_lo, exec_lo, s8
	; wave barrier
	s_and_saveexec_b32 s8, s0
	s_cbranch_execz .LBB52_6
; %bb.5:                                ;   in Loop: Header=BB52_2 Depth=1
	ds_store_b128 v6, v[0:3]
.LBB52_6:                               ;   in Loop: Header=BB52_2 Depth=1
	s_or_b32 exec_lo, exec_lo, s8
	; wave barrier
	s_and_saveexec_b32 s8, s1
	s_cbranch_execz .LBB52_8
; %bb.7:                                ;   in Loop: Header=BB52_2 Depth=1
	ds_load_b128 v[12:15], v8
	s_waitcnt lgkmcnt(0)
	v_add_co_u32 v0, vcc_lo, v12, v0
	v_add_co_ci_u32_e32 v1, vcc_lo, v13, v1, vcc_lo
	v_add_co_ci_u32_e32 v2, vcc_lo, v14, v2, vcc_lo
	;; [unrolled: 1-line block ×3, first 2 shown]
.LBB52_8:                               ;   in Loop: Header=BB52_2 Depth=1
	s_or_b32 exec_lo, exec_lo, s8
	; wave barrier
	s_and_saveexec_b32 s8, s1
	s_cbranch_execz .LBB52_10
; %bb.9:                                ;   in Loop: Header=BB52_2 Depth=1
	ds_store_b128 v6, v[0:3]
.LBB52_10:                              ;   in Loop: Header=BB52_2 Depth=1
	s_or_b32 exec_lo, exec_lo, s8
	; wave barrier
	s_and_saveexec_b32 s8, s2
	s_cbranch_execz .LBB52_12
; %bb.11:                               ;   in Loop: Header=BB52_2 Depth=1
	ds_load_b128 v[12:15], v9
	s_waitcnt lgkmcnt(0)
	v_add_co_u32 v0, vcc_lo, v12, v0
	v_add_co_ci_u32_e32 v1, vcc_lo, v13, v1, vcc_lo
	v_add_co_ci_u32_e32 v2, vcc_lo, v14, v2, vcc_lo
	;; [unrolled: 1-line block ×3, first 2 shown]
.LBB52_12:                              ;   in Loop: Header=BB52_2 Depth=1
	s_or_b32 exec_lo, exec_lo, s8
	; wave barrier
	s_and_saveexec_b32 s8, s2
	s_cbranch_execz .LBB52_14
; %bb.13:                               ;   in Loop: Header=BB52_2 Depth=1
	ds_store_b128 v6, v[0:3]
.LBB52_14:                              ;   in Loop: Header=BB52_2 Depth=1
	s_or_b32 exec_lo, exec_lo, s8
	; wave barrier
	s_and_saveexec_b32 s8, s3
	s_cbranch_execz .LBB52_16
; %bb.15:                               ;   in Loop: Header=BB52_2 Depth=1
	ds_load_b128 v[12:15], v10
	s_waitcnt lgkmcnt(0)
	v_add_co_u32 v0, vcc_lo, v12, v0
	v_add_co_ci_u32_e32 v1, vcc_lo, v13, v1, vcc_lo
	v_add_co_ci_u32_e32 v2, vcc_lo, v14, v2, vcc_lo
	;; [unrolled: 1-line block ×3, first 2 shown]
.LBB52_16:                              ;   in Loop: Header=BB52_2 Depth=1
	s_or_b32 exec_lo, exec_lo, s8
	; wave barrier
	s_and_saveexec_b32 s8, s3
	s_cbranch_execz .LBB52_18
; %bb.17:                               ;   in Loop: Header=BB52_2 Depth=1
	ds_store_b128 v6, v[0:3]
.LBB52_18:                              ;   in Loop: Header=BB52_2 Depth=1
	s_or_b32 exec_lo, exec_lo, s8
	; wave barrier
	s_and_saveexec_b32 s8, s4
	s_cbranch_execz .LBB52_20
; %bb.19:                               ;   in Loop: Header=BB52_2 Depth=1
	ds_load_b128 v[12:15], v11
	s_waitcnt lgkmcnt(0)
	v_add_co_u32 v0, vcc_lo, v12, v0
	v_add_co_ci_u32_e32 v1, vcc_lo, v13, v1, vcc_lo
	v_add_co_ci_u32_e32 v2, vcc_lo, v14, v2, vcc_lo
	;; [unrolled: 1-line block ×3, first 2 shown]
.LBB52_20:                              ;   in Loop: Header=BB52_2 Depth=1
	s_or_b32 exec_lo, exec_lo, s8
	; wave barrier
	s_and_saveexec_b32 s8, s4
	s_cbranch_execz .LBB52_1
; %bb.21:                               ;   in Loop: Header=BB52_2 Depth=1
	ds_store_b128 v6, v[0:3]
	s_branch .LBB52_1
.LBB52_22:
	v_add_co_u32 v4, vcc_lo, s6, v4
	v_add_co_ci_u32_e32 v5, vcc_lo, s7, v5, vcc_lo
	global_store_b128 v[4:5], v[0:3], off
	s_nop 0
	s_sendmsg sendmsg(MSG_DEALLOC_VGPRS)
	s_endpgm
	.section	.rodata,"a",@progbits
	.p2align	6, 0x0
	.amdhsa_kernel _Z6kernelI14inclusive_scannLj31ELj100EEvPKT0_PS1_S1_
		.amdhsa_group_segment_fixed_size 496
		.amdhsa_private_segment_fixed_size 0
		.amdhsa_kernarg_size 288
		.amdhsa_user_sgpr_count 15
		.amdhsa_user_sgpr_dispatch_ptr 0
		.amdhsa_user_sgpr_queue_ptr 0
		.amdhsa_user_sgpr_kernarg_segment_ptr 1
		.amdhsa_user_sgpr_dispatch_id 0
		.amdhsa_user_sgpr_private_segment_size 0
		.amdhsa_wavefront_size32 1
		.amdhsa_uses_dynamic_stack 0
		.amdhsa_enable_private_segment 0
		.amdhsa_system_sgpr_workgroup_id_x 1
		.amdhsa_system_sgpr_workgroup_id_y 0
		.amdhsa_system_sgpr_workgroup_id_z 0
		.amdhsa_system_sgpr_workgroup_info 0
		.amdhsa_system_vgpr_workitem_id 0
		.amdhsa_next_free_vgpr 16
		.amdhsa_next_free_sgpr 16
		.amdhsa_reserve_vcc 1
		.amdhsa_float_round_mode_32 0
		.amdhsa_float_round_mode_16_64 0
		.amdhsa_float_denorm_mode_32 3
		.amdhsa_float_denorm_mode_16_64 3
		.amdhsa_dx10_clamp 1
		.amdhsa_ieee_mode 1
		.amdhsa_fp16_overflow 0
		.amdhsa_workgroup_processor_mode 1
		.amdhsa_memory_ordered 1
		.amdhsa_forward_progress 0
		.amdhsa_shared_vgpr_count 0
		.amdhsa_exception_fp_ieee_invalid_op 0
		.amdhsa_exception_fp_denorm_src 0
		.amdhsa_exception_fp_ieee_div_zero 0
		.amdhsa_exception_fp_ieee_overflow 0
		.amdhsa_exception_fp_ieee_underflow 0
		.amdhsa_exception_fp_ieee_inexact 0
		.amdhsa_exception_int_div_zero 0
	.end_amdhsa_kernel
	.section	.text._Z6kernelI14inclusive_scannLj31ELj100EEvPKT0_PS1_S1_,"axG",@progbits,_Z6kernelI14inclusive_scannLj31ELj100EEvPKT0_PS1_S1_,comdat
.Lfunc_end52:
	.size	_Z6kernelI14inclusive_scannLj31ELj100EEvPKT0_PS1_S1_, .Lfunc_end52-_Z6kernelI14inclusive_scannLj31ELj100EEvPKT0_PS1_S1_
                                        ; -- End function
	.section	.AMDGPU.csdata,"",@progbits
; Kernel info:
; codeLenInByte = 576
; NumSgprs: 18
; NumVgprs: 16
; ScratchSize: 0
; MemoryBound: 0
; FloatMode: 240
; IeeeMode: 1
; LDSByteSize: 496 bytes/workgroup (compile time only)
; SGPRBlocks: 2
; VGPRBlocks: 1
; NumSGPRsForWavesPerEU: 18
; NumVGPRsForWavesPerEU: 16
; Occupancy: 16
; WaveLimiterHint : 0
; COMPUTE_PGM_RSRC2:SCRATCH_EN: 0
; COMPUTE_PGM_RSRC2:USER_SGPR: 15
; COMPUTE_PGM_RSRC2:TRAP_HANDLER: 0
; COMPUTE_PGM_RSRC2:TGID_X_EN: 1
; COMPUTE_PGM_RSRC2:TGID_Y_EN: 0
; COMPUTE_PGM_RSRC2:TGID_Z_EN: 0
; COMPUTE_PGM_RSRC2:TIDIG_COMP_CNT: 0
	.section	.text._Z6kernelI14inclusive_scannLj15ELj100EEvPKT0_PS1_S1_,"axG",@progbits,_Z6kernelI14inclusive_scannLj15ELj100EEvPKT0_PS1_S1_,comdat
	.protected	_Z6kernelI14inclusive_scannLj15ELj100EEvPKT0_PS1_S1_ ; -- Begin function _Z6kernelI14inclusive_scannLj15ELj100EEvPKT0_PS1_S1_
	.globl	_Z6kernelI14inclusive_scannLj15ELj100EEvPKT0_PS1_S1_
	.p2align	8
	.type	_Z6kernelI14inclusive_scannLj15ELj100EEvPKT0_PS1_S1_,@function
_Z6kernelI14inclusive_scannLj15ELj100EEvPKT0_PS1_S1_: ; @_Z6kernelI14inclusive_scannLj15ELj100EEvPKT0_PS1_S1_
; %bb.0:
	s_clause 0x1
	s_load_b32 s2, s[0:1], 0x2c
	s_load_b128 s[4:7], s[0:1], 0x0
	v_mbcnt_lo_u32_b32 v6, -1, 0
	s_delay_alu instid0(VALU_DEP_1) | instskip(NEXT) | instid1(VALU_DEP_1)
	v_mul_hi_u32 v7, 0x11111112, v6
	v_mul_u32_u24_e32 v7, 15, v7
	s_delay_alu instid0(VALU_DEP_1) | instskip(SKIP_2) | instid1(SALU_CYCLE_1)
	v_sub_nc_u32_e32 v7, v6, v7
	s_waitcnt lgkmcnt(0)
	s_and_b32 s0, s2, 0xffff
	v_mad_u64_u32 v[1:2], null, s15, s0, v[0:1]
	s_delay_alu instid0(VALU_DEP_2)
	v_lshlrev_b32_e32 v6, 4, v7
	v_mov_b32_e32 v2, 0
	v_cmp_ne_u32_e64 s0, 0, v7
	v_cmp_lt_u32_e64 s1, 1, v7
	v_cmp_lt_u32_e64 s2, 3, v7
	;; [unrolled: 1-line block ×3, first 2 shown]
	v_add_nc_u32_e32 v7, -16, v6
	v_lshlrev_b64 v[4:5], 4, v[1:2]
	v_subrev_nc_u32_e32 v8, 32, v6
	v_subrev_nc_u32_e32 v9, 64, v6
	v_add_nc_u32_e32 v10, 0xffffff80, v6
	s_delay_alu instid0(VALU_DEP_4)
	v_add_co_u32 v0, vcc_lo, s4, v4
	v_add_co_ci_u32_e32 v1, vcc_lo, s5, v5, vcc_lo
	s_movk_i32 s4, 0x64
	global_load_b128 v[0:3], v[0:1], off
	s_branch .LBB53_2
.LBB53_1:                               ;   in Loop: Header=BB53_2 Depth=1
	s_or_b32 exec_lo, exec_lo, s5
	s_add_i32 s4, s4, -1
	s_delay_alu instid0(SALU_CYCLE_1)
	s_cmp_lg_u32 s4, 0
	; wave barrier
	s_cbranch_scc0 .LBB53_18
.LBB53_2:                               ; =>This Inner Loop Header: Depth=1
	s_waitcnt vmcnt(0)
	ds_store_b128 v6, v[0:3]
	; wave barrier
	s_and_saveexec_b32 s5, s0
	s_cbranch_execz .LBB53_4
; %bb.3:                                ;   in Loop: Header=BB53_2 Depth=1
	ds_load_b128 v[11:14], v7
	s_waitcnt lgkmcnt(0)
	v_add_co_u32 v0, vcc_lo, v11, v0
	v_add_co_ci_u32_e32 v1, vcc_lo, v12, v1, vcc_lo
	v_add_co_ci_u32_e32 v2, vcc_lo, v13, v2, vcc_lo
	;; [unrolled: 1-line block ×3, first 2 shown]
.LBB53_4:                               ;   in Loop: Header=BB53_2 Depth=1
	s_or_b32 exec_lo, exec_lo, s5
	; wave barrier
	s_and_saveexec_b32 s5, s0
	s_cbranch_execz .LBB53_6
; %bb.5:                                ;   in Loop: Header=BB53_2 Depth=1
	ds_store_b128 v6, v[0:3]
.LBB53_6:                               ;   in Loop: Header=BB53_2 Depth=1
	s_or_b32 exec_lo, exec_lo, s5
	; wave barrier
	s_and_saveexec_b32 s5, s1
	s_cbranch_execz .LBB53_8
; %bb.7:                                ;   in Loop: Header=BB53_2 Depth=1
	ds_load_b128 v[11:14], v8
	s_waitcnt lgkmcnt(0)
	v_add_co_u32 v0, vcc_lo, v11, v0
	v_add_co_ci_u32_e32 v1, vcc_lo, v12, v1, vcc_lo
	v_add_co_ci_u32_e32 v2, vcc_lo, v13, v2, vcc_lo
	;; [unrolled: 1-line block ×3, first 2 shown]
.LBB53_8:                               ;   in Loop: Header=BB53_2 Depth=1
	s_or_b32 exec_lo, exec_lo, s5
	; wave barrier
	s_and_saveexec_b32 s5, s1
	s_cbranch_execz .LBB53_10
; %bb.9:                                ;   in Loop: Header=BB53_2 Depth=1
	ds_store_b128 v6, v[0:3]
.LBB53_10:                              ;   in Loop: Header=BB53_2 Depth=1
	s_or_b32 exec_lo, exec_lo, s5
	; wave barrier
	s_and_saveexec_b32 s5, s2
	s_cbranch_execz .LBB53_12
; %bb.11:                               ;   in Loop: Header=BB53_2 Depth=1
	ds_load_b128 v[11:14], v9
	s_waitcnt lgkmcnt(0)
	v_add_co_u32 v0, vcc_lo, v11, v0
	v_add_co_ci_u32_e32 v1, vcc_lo, v12, v1, vcc_lo
	v_add_co_ci_u32_e32 v2, vcc_lo, v13, v2, vcc_lo
	v_add_co_ci_u32_e32 v3, vcc_lo, v14, v3, vcc_lo
.LBB53_12:                              ;   in Loop: Header=BB53_2 Depth=1
	s_or_b32 exec_lo, exec_lo, s5
	; wave barrier
	s_and_saveexec_b32 s5, s2
	s_cbranch_execz .LBB53_14
; %bb.13:                               ;   in Loop: Header=BB53_2 Depth=1
	ds_store_b128 v6, v[0:3]
.LBB53_14:                              ;   in Loop: Header=BB53_2 Depth=1
	s_or_b32 exec_lo, exec_lo, s5
	; wave barrier
	s_and_saveexec_b32 s5, s3
	s_cbranch_execz .LBB53_16
; %bb.15:                               ;   in Loop: Header=BB53_2 Depth=1
	ds_load_b128 v[11:14], v10
	s_waitcnt lgkmcnt(0)
	v_add_co_u32 v0, vcc_lo, v11, v0
	v_add_co_ci_u32_e32 v1, vcc_lo, v12, v1, vcc_lo
	v_add_co_ci_u32_e32 v2, vcc_lo, v13, v2, vcc_lo
	;; [unrolled: 1-line block ×3, first 2 shown]
.LBB53_16:                              ;   in Loop: Header=BB53_2 Depth=1
	s_or_b32 exec_lo, exec_lo, s5
	; wave barrier
	s_and_saveexec_b32 s5, s3
	s_cbranch_execz .LBB53_1
; %bb.17:                               ;   in Loop: Header=BB53_2 Depth=1
	ds_store_b128 v6, v[0:3]
	s_branch .LBB53_1
.LBB53_18:
	v_add_co_u32 v4, vcc_lo, s6, v4
	v_add_co_ci_u32_e32 v5, vcc_lo, s7, v5, vcc_lo
	global_store_b128 v[4:5], v[0:3], off
	s_nop 0
	s_sendmsg sendmsg(MSG_DEALLOC_VGPRS)
	s_endpgm
	.section	.rodata,"a",@progbits
	.p2align	6, 0x0
	.amdhsa_kernel _Z6kernelI14inclusive_scannLj15ELj100EEvPKT0_PS1_S1_
		.amdhsa_group_segment_fixed_size 240
		.amdhsa_private_segment_fixed_size 0
		.amdhsa_kernarg_size 288
		.amdhsa_user_sgpr_count 15
		.amdhsa_user_sgpr_dispatch_ptr 0
		.amdhsa_user_sgpr_queue_ptr 0
		.amdhsa_user_sgpr_kernarg_segment_ptr 1
		.amdhsa_user_sgpr_dispatch_id 0
		.amdhsa_user_sgpr_private_segment_size 0
		.amdhsa_wavefront_size32 1
		.amdhsa_uses_dynamic_stack 0
		.amdhsa_enable_private_segment 0
		.amdhsa_system_sgpr_workgroup_id_x 1
		.amdhsa_system_sgpr_workgroup_id_y 0
		.amdhsa_system_sgpr_workgroup_id_z 0
		.amdhsa_system_sgpr_workgroup_info 0
		.amdhsa_system_vgpr_workitem_id 0
		.amdhsa_next_free_vgpr 15
		.amdhsa_next_free_sgpr 16
		.amdhsa_reserve_vcc 1
		.amdhsa_float_round_mode_32 0
		.amdhsa_float_round_mode_16_64 0
		.amdhsa_float_denorm_mode_32 3
		.amdhsa_float_denorm_mode_16_64 3
		.amdhsa_dx10_clamp 1
		.amdhsa_ieee_mode 1
		.amdhsa_fp16_overflow 0
		.amdhsa_workgroup_processor_mode 1
		.amdhsa_memory_ordered 1
		.amdhsa_forward_progress 0
		.amdhsa_shared_vgpr_count 0
		.amdhsa_exception_fp_ieee_invalid_op 0
		.amdhsa_exception_fp_denorm_src 0
		.amdhsa_exception_fp_ieee_div_zero 0
		.amdhsa_exception_fp_ieee_overflow 0
		.amdhsa_exception_fp_ieee_underflow 0
		.amdhsa_exception_fp_ieee_inexact 0
		.amdhsa_exception_int_div_zero 0
	.end_amdhsa_kernel
	.section	.text._Z6kernelI14inclusive_scannLj15ELj100EEvPKT0_PS1_S1_,"axG",@progbits,_Z6kernelI14inclusive_scannLj15ELj100EEvPKT0_PS1_S1_,comdat
.Lfunc_end53:
	.size	_Z6kernelI14inclusive_scannLj15ELj100EEvPKT0_PS1_S1_, .Lfunc_end53-_Z6kernelI14inclusive_scannLj15ELj100EEvPKT0_PS1_S1_
                                        ; -- End function
	.section	.AMDGPU.csdata,"",@progbits
; Kernel info:
; codeLenInByte = 500
; NumSgprs: 18
; NumVgprs: 15
; ScratchSize: 0
; MemoryBound: 0
; FloatMode: 240
; IeeeMode: 1
; LDSByteSize: 240 bytes/workgroup (compile time only)
; SGPRBlocks: 2
; VGPRBlocks: 1
; NumSGPRsForWavesPerEU: 18
; NumVGPRsForWavesPerEU: 15
; Occupancy: 16
; WaveLimiterHint : 0
; COMPUTE_PGM_RSRC2:SCRATCH_EN: 0
; COMPUTE_PGM_RSRC2:USER_SGPR: 15
; COMPUTE_PGM_RSRC2:TRAP_HANDLER: 0
; COMPUTE_PGM_RSRC2:TGID_X_EN: 1
; COMPUTE_PGM_RSRC2:TGID_Y_EN: 0
; COMPUTE_PGM_RSRC2:TGID_Z_EN: 0
; COMPUTE_PGM_RSRC2:TIDIG_COMP_CNT: 0
	.section	.text._Z6kernelI14inclusive_scanoLj64ELj100EEvPKT0_PS1_S1_,"axG",@progbits,_Z6kernelI14inclusive_scanoLj64ELj100EEvPKT0_PS1_S1_,comdat
	.protected	_Z6kernelI14inclusive_scanoLj64ELj100EEvPKT0_PS1_S1_ ; -- Begin function _Z6kernelI14inclusive_scanoLj64ELj100EEvPKT0_PS1_S1_
	.globl	_Z6kernelI14inclusive_scanoLj64ELj100EEvPKT0_PS1_S1_
	.p2align	8
	.type	_Z6kernelI14inclusive_scanoLj64ELj100EEvPKT0_PS1_S1_,@function
_Z6kernelI14inclusive_scanoLj64ELj100EEvPKT0_PS1_S1_: ; @_Z6kernelI14inclusive_scanoLj64ELj100EEvPKT0_PS1_S1_
; %bb.0:
	s_clause 0x1
	s_load_b32 s4, s[0:1], 0x2c
	s_load_b128 s[0:3], s[0:1], 0x0
	s_waitcnt lgkmcnt(0)
	s_and_b32 s4, s4, 0xffff
	s_delay_alu instid0(SALU_CYCLE_1) | instskip(SKIP_1) | instid1(VALU_DEP_1)
	v_mad_u64_u32 v[1:2], null, s15, s4, v[0:1]
	v_mov_b32_e32 v2, 0
	v_lshlrev_b64 v[4:5], 4, v[1:2]
	s_delay_alu instid0(VALU_DEP_1) | instskip(NEXT) | instid1(VALU_DEP_2)
	v_add_co_u32 v0, vcc_lo, s0, v4
	v_add_co_ci_u32_e32 v1, vcc_lo, s1, v5, vcc_lo
	v_add_co_u32 v4, vcc_lo, s2, v4
	v_add_co_ci_u32_e32 v5, vcc_lo, s3, v5, vcc_lo
	global_load_b128 v[0:3], v[0:1], off
	s_waitcnt vmcnt(0)
	global_store_b128 v[4:5], v[0:3], off
	s_nop 0
	s_sendmsg sendmsg(MSG_DEALLOC_VGPRS)
	s_endpgm
	.section	.rodata,"a",@progbits
	.p2align	6, 0x0
	.amdhsa_kernel _Z6kernelI14inclusive_scanoLj64ELj100EEvPKT0_PS1_S1_
		.amdhsa_group_segment_fixed_size 0
		.amdhsa_private_segment_fixed_size 0
		.amdhsa_kernarg_size 288
		.amdhsa_user_sgpr_count 15
		.amdhsa_user_sgpr_dispatch_ptr 0
		.amdhsa_user_sgpr_queue_ptr 0
		.amdhsa_user_sgpr_kernarg_segment_ptr 1
		.amdhsa_user_sgpr_dispatch_id 0
		.amdhsa_user_sgpr_private_segment_size 0
		.amdhsa_wavefront_size32 1
		.amdhsa_uses_dynamic_stack 0
		.amdhsa_enable_private_segment 0
		.amdhsa_system_sgpr_workgroup_id_x 1
		.amdhsa_system_sgpr_workgroup_id_y 0
		.amdhsa_system_sgpr_workgroup_id_z 0
		.amdhsa_system_sgpr_workgroup_info 0
		.amdhsa_system_vgpr_workitem_id 0
		.amdhsa_next_free_vgpr 6
		.amdhsa_next_free_sgpr 16
		.amdhsa_reserve_vcc 1
		.amdhsa_float_round_mode_32 0
		.amdhsa_float_round_mode_16_64 0
		.amdhsa_float_denorm_mode_32 3
		.amdhsa_float_denorm_mode_16_64 3
		.amdhsa_dx10_clamp 1
		.amdhsa_ieee_mode 1
		.amdhsa_fp16_overflow 0
		.amdhsa_workgroup_processor_mode 1
		.amdhsa_memory_ordered 1
		.amdhsa_forward_progress 0
		.amdhsa_shared_vgpr_count 0
		.amdhsa_exception_fp_ieee_invalid_op 0
		.amdhsa_exception_fp_denorm_src 0
		.amdhsa_exception_fp_ieee_div_zero 0
		.amdhsa_exception_fp_ieee_overflow 0
		.amdhsa_exception_fp_ieee_underflow 0
		.amdhsa_exception_fp_ieee_inexact 0
		.amdhsa_exception_int_div_zero 0
	.end_amdhsa_kernel
	.section	.text._Z6kernelI14inclusive_scanoLj64ELj100EEvPKT0_PS1_S1_,"axG",@progbits,_Z6kernelI14inclusive_scanoLj64ELj100EEvPKT0_PS1_S1_,comdat
.Lfunc_end54:
	.size	_Z6kernelI14inclusive_scanoLj64ELj100EEvPKT0_PS1_S1_, .Lfunc_end54-_Z6kernelI14inclusive_scanoLj64ELj100EEvPKT0_PS1_S1_
                                        ; -- End function
	.section	.AMDGPU.csdata,"",@progbits
; Kernel info:
; codeLenInByte = 116
; NumSgprs: 18
; NumVgprs: 6
; ScratchSize: 0
; MemoryBound: 0
; FloatMode: 240
; IeeeMode: 1
; LDSByteSize: 0 bytes/workgroup (compile time only)
; SGPRBlocks: 2
; VGPRBlocks: 0
; NumSGPRsForWavesPerEU: 18
; NumVGPRsForWavesPerEU: 6
; Occupancy: 16
; WaveLimiterHint : 0
; COMPUTE_PGM_RSRC2:SCRATCH_EN: 0
; COMPUTE_PGM_RSRC2:USER_SGPR: 15
; COMPUTE_PGM_RSRC2:TRAP_HANDLER: 0
; COMPUTE_PGM_RSRC2:TGID_X_EN: 1
; COMPUTE_PGM_RSRC2:TGID_Y_EN: 0
; COMPUTE_PGM_RSRC2:TGID_Z_EN: 0
; COMPUTE_PGM_RSRC2:TIDIG_COMP_CNT: 0
	.section	.text._Z6kernelI14inclusive_scanoLj32ELj100EEvPKT0_PS1_S1_,"axG",@progbits,_Z6kernelI14inclusive_scanoLj32ELj100EEvPKT0_PS1_S1_,comdat
	.protected	_Z6kernelI14inclusive_scanoLj32ELj100EEvPKT0_PS1_S1_ ; -- Begin function _Z6kernelI14inclusive_scanoLj32ELj100EEvPKT0_PS1_S1_
	.globl	_Z6kernelI14inclusive_scanoLj32ELj100EEvPKT0_PS1_S1_
	.p2align	8
	.type	_Z6kernelI14inclusive_scanoLj32ELj100EEvPKT0_PS1_S1_,@function
_Z6kernelI14inclusive_scanoLj32ELj100EEvPKT0_PS1_S1_: ; @_Z6kernelI14inclusive_scanoLj32ELj100EEvPKT0_PS1_S1_
; %bb.0:
	s_clause 0x1
	s_load_b32 s2, s[0:1], 0x2c
	s_load_b128 s[4:7], s[0:1], 0x0
	v_mbcnt_lo_u32_b32 v6, -1, 0
	s_delay_alu instid0(VALU_DEP_1) | instskip(SKIP_1) | instid1(VALU_DEP_2)
	v_and_b32_e32 v7, 15, v6
	v_and_b32_e32 v6, 16, v6
	v_cmp_lt_u32_e64 s1, 1, v7
	v_cmp_lt_u32_e64 s3, 7, v7
	s_waitcnt lgkmcnt(0)
	s_and_b32 s0, s2, 0xffff
	v_cmp_lt_u32_e64 s2, 3, v7
	v_mad_u64_u32 v[1:2], null, s15, s0, v[0:1]
	v_mov_b32_e32 v2, 0
	v_cmp_ne_u32_e64 s0, 0, v7
	s_delay_alu instid0(VALU_DEP_2) | instskip(NEXT) | instid1(VALU_DEP_1)
	v_lshlrev_b64 v[4:5], 4, v[1:2]
	v_add_co_u32 v0, vcc_lo, s4, v4
	s_delay_alu instid0(VALU_DEP_2)
	v_add_co_ci_u32_e32 v1, vcc_lo, s5, v5, vcc_lo
	v_cmp_ne_u32_e64 s4, 0, v6
	s_movk_i32 s5, 0x64
	global_load_b128 v[0:3], v[0:1], off
	s_branch .LBB55_2
.LBB55_1:                               ;   in Loop: Header=BB55_2 Depth=1
	s_or_b32 exec_lo, exec_lo, s8
	s_add_i32 s5, s5, -1
	s_delay_alu instid0(SALU_CYCLE_1)
	s_cmp_lg_u32 s5, 0
	s_cbranch_scc0 .LBB55_12
.LBB55_2:                               ; =>This Inner Loop Header: Depth=1
	s_waitcnt vmcnt(0)
	v_mov_b32_dpp v11, v0 row_shr:1 row_mask:0xf bank_mask:0xf
	v_mov_b32_dpp v10, v1 row_shr:1 row_mask:0xf bank_mask:0xf
	s_waitcnt lgkmcnt(3)
	v_mov_b32_dpp v9, v2 row_shr:1 row_mask:0xf bank_mask:0xf
	s_waitcnt lgkmcnt(2)
	v_mov_b32_dpp v8, v3 row_shr:1 row_mask:0xf bank_mask:0xf
	s_waitcnt lgkmcnt(0)
	v_dual_mov_b32 v7, v2 :: v_dual_mov_b32 v6, v0
	s_and_saveexec_b32 s8, s0
	s_cbranch_execz .LBB55_4
; %bb.3:                                ;   in Loop: Header=BB55_2 Depth=1
	v_add_co_u32 v6, vcc_lo, v0, v11
	v_add_co_ci_u32_e32 v1, vcc_lo, 0, v1, vcc_lo
	v_add_co_ci_u32_e32 v2, vcc_lo, 0, v2, vcc_lo
	;; [unrolled: 1-line block ×3, first 2 shown]
	s_delay_alu instid0(VALU_DEP_4) | instskip(NEXT) | instid1(VALU_DEP_4)
	v_add_co_u32 v0, vcc_lo, 0, v6
	v_add_co_ci_u32_e32 v1, vcc_lo, v10, v1, vcc_lo
	s_delay_alu instid0(VALU_DEP_4) | instskip(NEXT) | instid1(VALU_DEP_4)
	v_add_co_ci_u32_e32 v2, vcc_lo, 0, v2, vcc_lo
	v_add_co_ci_u32_e32 v3, vcc_lo, 0, v3, vcc_lo
	s_delay_alu instid0(VALU_DEP_2) | instskip(NEXT) | instid1(VALU_DEP_2)
	v_add_co_u32 v7, vcc_lo, v2, v9
	v_add_co_ci_u32_e32 v3, vcc_lo, 0, v3, vcc_lo
	s_delay_alu instid0(VALU_DEP_2) | instskip(NEXT) | instid1(VALU_DEP_2)
	v_add_co_u32 v2, vcc_lo, v7, 0
	v_add_co_ci_u32_e32 v3, vcc_lo, v3, v8, vcc_lo
.LBB55_4:                               ;   in Loop: Header=BB55_2 Depth=1
	s_or_b32 exec_lo, exec_lo, s8
	s_delay_alu instid0(VALU_DEP_1)
	v_mov_b32_dpp v11, v6 row_shr:2 row_mask:0xf bank_mask:0xf
	v_mov_b32_dpp v10, v1 row_shr:2 row_mask:0xf bank_mask:0xf
	;; [unrolled: 1-line block ×4, first 2 shown]
	s_and_saveexec_b32 s8, s1
	s_cbranch_execz .LBB55_6
; %bb.5:                                ;   in Loop: Header=BB55_2 Depth=1
	v_add_co_u32 v6, vcc_lo, v0, v11
	v_add_co_ci_u32_e32 v1, vcc_lo, 0, v1, vcc_lo
	v_add_co_ci_u32_e32 v2, vcc_lo, 0, v2, vcc_lo
	;; [unrolled: 1-line block ×3, first 2 shown]
	s_delay_alu instid0(VALU_DEP_4) | instskip(NEXT) | instid1(VALU_DEP_4)
	v_add_co_u32 v0, vcc_lo, 0, v6
	v_add_co_ci_u32_e32 v1, vcc_lo, v10, v1, vcc_lo
	s_delay_alu instid0(VALU_DEP_4) | instskip(NEXT) | instid1(VALU_DEP_4)
	v_add_co_ci_u32_e32 v2, vcc_lo, 0, v2, vcc_lo
	v_add_co_ci_u32_e32 v3, vcc_lo, 0, v3, vcc_lo
	s_delay_alu instid0(VALU_DEP_2) | instskip(NEXT) | instid1(VALU_DEP_2)
	v_add_co_u32 v7, vcc_lo, v2, v9
	v_add_co_ci_u32_e32 v3, vcc_lo, 0, v3, vcc_lo
	s_delay_alu instid0(VALU_DEP_2) | instskip(NEXT) | instid1(VALU_DEP_2)
	v_add_co_u32 v2, vcc_lo, v7, 0
	v_add_co_ci_u32_e32 v3, vcc_lo, v3, v8, vcc_lo
.LBB55_6:                               ;   in Loop: Header=BB55_2 Depth=1
	s_or_b32 exec_lo, exec_lo, s8
	v_mov_b32_dpp v11, v6 row_shr:4 row_mask:0xf bank_mask:0xf
	v_mov_b32_dpp v10, v1 row_shr:4 row_mask:0xf bank_mask:0xf
	;; [unrolled: 1-line block ×4, first 2 shown]
	s_and_saveexec_b32 s8, s2
	s_cbranch_execz .LBB55_8
; %bb.7:                                ;   in Loop: Header=BB55_2 Depth=1
	v_add_co_u32 v6, vcc_lo, v0, v11
	v_add_co_ci_u32_e32 v1, vcc_lo, 0, v1, vcc_lo
	v_add_co_ci_u32_e32 v2, vcc_lo, 0, v2, vcc_lo
	v_add_co_ci_u32_e32 v3, vcc_lo, 0, v3, vcc_lo
	s_delay_alu instid0(VALU_DEP_4) | instskip(NEXT) | instid1(VALU_DEP_4)
	v_add_co_u32 v0, vcc_lo, 0, v6
	v_add_co_ci_u32_e32 v1, vcc_lo, v10, v1, vcc_lo
	s_delay_alu instid0(VALU_DEP_4) | instskip(NEXT) | instid1(VALU_DEP_4)
	v_add_co_ci_u32_e32 v2, vcc_lo, 0, v2, vcc_lo
	v_add_co_ci_u32_e32 v3, vcc_lo, 0, v3, vcc_lo
	s_delay_alu instid0(VALU_DEP_2) | instskip(NEXT) | instid1(VALU_DEP_2)
	v_add_co_u32 v7, vcc_lo, v2, v9
	v_add_co_ci_u32_e32 v3, vcc_lo, 0, v3, vcc_lo
	s_delay_alu instid0(VALU_DEP_2) | instskip(NEXT) | instid1(VALU_DEP_2)
	v_add_co_u32 v2, vcc_lo, v7, 0
	v_add_co_ci_u32_e32 v3, vcc_lo, v3, v8, vcc_lo
.LBB55_8:                               ;   in Loop: Header=BB55_2 Depth=1
	s_or_b32 exec_lo, exec_lo, s8
	v_mov_b32_dpp v11, v6 row_shr:8 row_mask:0xf bank_mask:0xf
	v_mov_b32_dpp v10, v1 row_shr:8 row_mask:0xf bank_mask:0xf
	;; [unrolled: 1-line block ×4, first 2 shown]
	s_and_saveexec_b32 s8, s3
	s_cbranch_execz .LBB55_10
; %bb.9:                                ;   in Loop: Header=BB55_2 Depth=1
	v_add_co_u32 v6, vcc_lo, v0, v11
	v_add_co_ci_u32_e32 v1, vcc_lo, 0, v1, vcc_lo
	v_add_co_ci_u32_e32 v2, vcc_lo, 0, v2, vcc_lo
	v_add_co_ci_u32_e32 v3, vcc_lo, 0, v3, vcc_lo
	s_delay_alu instid0(VALU_DEP_4) | instskip(NEXT) | instid1(VALU_DEP_4)
	v_add_co_u32 v0, vcc_lo, 0, v6
	v_add_co_ci_u32_e32 v1, vcc_lo, v10, v1, vcc_lo
	s_delay_alu instid0(VALU_DEP_4) | instskip(NEXT) | instid1(VALU_DEP_4)
	v_add_co_ci_u32_e32 v2, vcc_lo, 0, v2, vcc_lo
	v_add_co_ci_u32_e32 v3, vcc_lo, 0, v3, vcc_lo
	s_delay_alu instid0(VALU_DEP_2) | instskip(NEXT) | instid1(VALU_DEP_2)
	v_add_co_u32 v7, vcc_lo, v2, v9
	v_add_co_ci_u32_e32 v3, vcc_lo, 0, v3, vcc_lo
	s_delay_alu instid0(VALU_DEP_2) | instskip(NEXT) | instid1(VALU_DEP_2)
	v_add_co_u32 v2, vcc_lo, v7, 0
	v_add_co_ci_u32_e32 v3, vcc_lo, v3, v8, vcc_lo
.LBB55_10:                              ;   in Loop: Header=BB55_2 Depth=1
	s_or_b32 exec_lo, exec_lo, s8
	ds_swizzle_b32 v9, v6 offset:swizzle(BROADCAST,32,15)
	ds_swizzle_b32 v8, v1 offset:swizzle(BROADCAST,32,15)
	ds_swizzle_b32 v7, v7 offset:swizzle(BROADCAST,32,15)
	ds_swizzle_b32 v6, v3 offset:swizzle(BROADCAST,32,15)
	s_and_saveexec_b32 s8, s4
	s_cbranch_execz .LBB55_1
; %bb.11:                               ;   in Loop: Header=BB55_2 Depth=1
	s_waitcnt lgkmcnt(3)
	v_add_co_u32 v0, vcc_lo, v0, v9
	v_add_co_ci_u32_e32 v1, vcc_lo, 0, v1, vcc_lo
	v_add_co_ci_u32_e32 v2, vcc_lo, 0, v2, vcc_lo
	;; [unrolled: 1-line block ×3, first 2 shown]
	s_delay_alu instid0(VALU_DEP_4)
	v_add_co_u32 v0, vcc_lo, v0, 0
	s_waitcnt lgkmcnt(2)
	v_add_co_ci_u32_e32 v1, vcc_lo, v1, v8, vcc_lo
	v_add_co_ci_u32_e32 v2, vcc_lo, 0, v2, vcc_lo
	;; [unrolled: 1-line block ×3, first 2 shown]
	s_waitcnt lgkmcnt(1)
	s_delay_alu instid0(VALU_DEP_2) | instskip(NEXT) | instid1(VALU_DEP_2)
	v_add_co_u32 v2, vcc_lo, v2, v7
	v_add_co_ci_u32_e32 v3, vcc_lo, 0, v3, vcc_lo
	s_delay_alu instid0(VALU_DEP_2) | instskip(SKIP_1) | instid1(VALU_DEP_2)
	v_add_co_u32 v2, vcc_lo, v2, 0
	s_waitcnt lgkmcnt(0)
	v_add_co_ci_u32_e32 v3, vcc_lo, v3, v6, vcc_lo
	s_branch .LBB55_1
.LBB55_12:
	v_add_co_u32 v4, vcc_lo, s6, v4
	v_add_co_ci_u32_e32 v5, vcc_lo, s7, v5, vcc_lo
	global_store_b128 v[4:5], v[0:3], off
	s_nop 0
	s_sendmsg sendmsg(MSG_DEALLOC_VGPRS)
	s_endpgm
	.section	.rodata,"a",@progbits
	.p2align	6, 0x0
	.amdhsa_kernel _Z6kernelI14inclusive_scanoLj32ELj100EEvPKT0_PS1_S1_
		.amdhsa_group_segment_fixed_size 0
		.amdhsa_private_segment_fixed_size 0
		.amdhsa_kernarg_size 288
		.amdhsa_user_sgpr_count 15
		.amdhsa_user_sgpr_dispatch_ptr 0
		.amdhsa_user_sgpr_queue_ptr 0
		.amdhsa_user_sgpr_kernarg_segment_ptr 1
		.amdhsa_user_sgpr_dispatch_id 0
		.amdhsa_user_sgpr_private_segment_size 0
		.amdhsa_wavefront_size32 1
		.amdhsa_uses_dynamic_stack 0
		.amdhsa_enable_private_segment 0
		.amdhsa_system_sgpr_workgroup_id_x 1
		.amdhsa_system_sgpr_workgroup_id_y 0
		.amdhsa_system_sgpr_workgroup_id_z 0
		.amdhsa_system_sgpr_workgroup_info 0
		.amdhsa_system_vgpr_workitem_id 0
		.amdhsa_next_free_vgpr 12
		.amdhsa_next_free_sgpr 16
		.amdhsa_reserve_vcc 1
		.amdhsa_float_round_mode_32 0
		.amdhsa_float_round_mode_16_64 0
		.amdhsa_float_denorm_mode_32 3
		.amdhsa_float_denorm_mode_16_64 3
		.amdhsa_dx10_clamp 1
		.amdhsa_ieee_mode 1
		.amdhsa_fp16_overflow 0
		.amdhsa_workgroup_processor_mode 1
		.amdhsa_memory_ordered 1
		.amdhsa_forward_progress 0
		.amdhsa_shared_vgpr_count 0
		.amdhsa_exception_fp_ieee_invalid_op 0
		.amdhsa_exception_fp_denorm_src 0
		.amdhsa_exception_fp_ieee_div_zero 0
		.amdhsa_exception_fp_ieee_overflow 0
		.amdhsa_exception_fp_ieee_underflow 0
		.amdhsa_exception_fp_ieee_inexact 0
		.amdhsa_exception_int_div_zero 0
	.end_amdhsa_kernel
	.section	.text._Z6kernelI14inclusive_scanoLj32ELj100EEvPKT0_PS1_S1_,"axG",@progbits,_Z6kernelI14inclusive_scanoLj32ELj100EEvPKT0_PS1_S1_,comdat
.Lfunc_end55:
	.size	_Z6kernelI14inclusive_scanoLj32ELj100EEvPKT0_PS1_S1_, .Lfunc_end55-_Z6kernelI14inclusive_scanoLj32ELj100EEvPKT0_PS1_S1_
                                        ; -- End function
	.section	.AMDGPU.csdata,"",@progbits
; Kernel info:
; codeLenInByte = 860
; NumSgprs: 18
; NumVgprs: 12
; ScratchSize: 0
; MemoryBound: 0
; FloatMode: 240
; IeeeMode: 1
; LDSByteSize: 0 bytes/workgroup (compile time only)
; SGPRBlocks: 2
; VGPRBlocks: 1
; NumSGPRsForWavesPerEU: 18
; NumVGPRsForWavesPerEU: 12
; Occupancy: 16
; WaveLimiterHint : 0
; COMPUTE_PGM_RSRC2:SCRATCH_EN: 0
; COMPUTE_PGM_RSRC2:USER_SGPR: 15
; COMPUTE_PGM_RSRC2:TRAP_HANDLER: 0
; COMPUTE_PGM_RSRC2:TGID_X_EN: 1
; COMPUTE_PGM_RSRC2:TGID_Y_EN: 0
; COMPUTE_PGM_RSRC2:TGID_Z_EN: 0
; COMPUTE_PGM_RSRC2:TIDIG_COMP_CNT: 0
	.section	.text._Z6kernelI14inclusive_scanoLj16ELj100EEvPKT0_PS1_S1_,"axG",@progbits,_Z6kernelI14inclusive_scanoLj16ELj100EEvPKT0_PS1_S1_,comdat
	.protected	_Z6kernelI14inclusive_scanoLj16ELj100EEvPKT0_PS1_S1_ ; -- Begin function _Z6kernelI14inclusive_scanoLj16ELj100EEvPKT0_PS1_S1_
	.globl	_Z6kernelI14inclusive_scanoLj16ELj100EEvPKT0_PS1_S1_
	.p2align	8
	.type	_Z6kernelI14inclusive_scanoLj16ELj100EEvPKT0_PS1_S1_,@function
_Z6kernelI14inclusive_scanoLj16ELj100EEvPKT0_PS1_S1_: ; @_Z6kernelI14inclusive_scanoLj16ELj100EEvPKT0_PS1_S1_
; %bb.0:
	s_clause 0x1
	s_load_b32 s2, s[0:1], 0x2c
	s_load_b128 s[4:7], s[0:1], 0x0
	v_mbcnt_lo_u32_b32 v6, -1, 0
	s_delay_alu instid0(VALU_DEP_1) | instskip(NEXT) | instid1(VALU_DEP_1)
	v_and_b32_e32 v6, 15, v6
	v_cmp_lt_u32_e64 s1, 1, v6
	v_cmp_lt_u32_e64 s3, 7, v6
	s_waitcnt lgkmcnt(0)
	s_and_b32 s0, s2, 0xffff
	v_cmp_lt_u32_e64 s2, 3, v6
	v_mad_u64_u32 v[1:2], null, s15, s0, v[0:1]
	v_mov_b32_e32 v2, 0
	v_cmp_ne_u32_e64 s0, 0, v6
	s_delay_alu instid0(VALU_DEP_2) | instskip(NEXT) | instid1(VALU_DEP_1)
	v_lshlrev_b64 v[4:5], 4, v[1:2]
	v_add_co_u32 v0, vcc_lo, s4, v4
	s_delay_alu instid0(VALU_DEP_2)
	v_add_co_ci_u32_e32 v1, vcc_lo, s5, v5, vcc_lo
	s_movk_i32 s4, 0x64
	global_load_b128 v[0:3], v[0:1], off
	s_branch .LBB56_2
.LBB56_1:                               ;   in Loop: Header=BB56_2 Depth=1
	s_or_b32 exec_lo, exec_lo, s5
	s_add_i32 s4, s4, -1
	s_delay_alu instid0(SALU_CYCLE_1)
	s_cmp_lg_u32 s4, 0
	s_cbranch_scc0 .LBB56_10
.LBB56_2:                               ; =>This Inner Loop Header: Depth=1
	s_waitcnt vmcnt(0)
	v_mov_b32_dpp v11, v0 row_shr:1 row_mask:0xf bank_mask:0xf
	v_mov_b32_dpp v10, v1 row_shr:1 row_mask:0xf bank_mask:0xf
	v_mov_b32_dpp v9, v2 row_shr:1 row_mask:0xf bank_mask:0xf
	v_mov_b32_dpp v8, v3 row_shr:1 row_mask:0xf bank_mask:0xf
	v_dual_mov_b32 v7, v2 :: v_dual_mov_b32 v6, v0
	s_and_saveexec_b32 s5, s0
	s_cbranch_execz .LBB56_4
; %bb.3:                                ;   in Loop: Header=BB56_2 Depth=1
	v_add_co_u32 v6, vcc_lo, v0, v11
	v_add_co_ci_u32_e32 v1, vcc_lo, 0, v1, vcc_lo
	v_add_co_ci_u32_e32 v2, vcc_lo, 0, v2, vcc_lo
	;; [unrolled: 1-line block ×3, first 2 shown]
	s_delay_alu instid0(VALU_DEP_4) | instskip(NEXT) | instid1(VALU_DEP_4)
	v_add_co_u32 v0, vcc_lo, 0, v6
	v_add_co_ci_u32_e32 v1, vcc_lo, v10, v1, vcc_lo
	s_delay_alu instid0(VALU_DEP_4) | instskip(NEXT) | instid1(VALU_DEP_4)
	v_add_co_ci_u32_e32 v2, vcc_lo, 0, v2, vcc_lo
	v_add_co_ci_u32_e32 v3, vcc_lo, 0, v3, vcc_lo
	s_delay_alu instid0(VALU_DEP_2) | instskip(NEXT) | instid1(VALU_DEP_2)
	v_add_co_u32 v7, vcc_lo, v2, v9
	v_add_co_ci_u32_e32 v3, vcc_lo, 0, v3, vcc_lo
	s_delay_alu instid0(VALU_DEP_2) | instskip(NEXT) | instid1(VALU_DEP_2)
	v_add_co_u32 v2, vcc_lo, v7, 0
	v_add_co_ci_u32_e32 v3, vcc_lo, v3, v8, vcc_lo
.LBB56_4:                               ;   in Loop: Header=BB56_2 Depth=1
	s_or_b32 exec_lo, exec_lo, s5
	s_delay_alu instid0(VALU_DEP_1)
	v_mov_b32_dpp v11, v6 row_shr:2 row_mask:0xf bank_mask:0xf
	v_mov_b32_dpp v10, v1 row_shr:2 row_mask:0xf bank_mask:0xf
	;; [unrolled: 1-line block ×4, first 2 shown]
	s_and_saveexec_b32 s5, s1
	s_cbranch_execz .LBB56_6
; %bb.5:                                ;   in Loop: Header=BB56_2 Depth=1
	v_add_co_u32 v6, vcc_lo, v0, v11
	v_add_co_ci_u32_e32 v1, vcc_lo, 0, v1, vcc_lo
	v_add_co_ci_u32_e32 v2, vcc_lo, 0, v2, vcc_lo
	;; [unrolled: 1-line block ×3, first 2 shown]
	s_delay_alu instid0(VALU_DEP_4) | instskip(NEXT) | instid1(VALU_DEP_4)
	v_add_co_u32 v0, vcc_lo, 0, v6
	v_add_co_ci_u32_e32 v1, vcc_lo, v10, v1, vcc_lo
	s_delay_alu instid0(VALU_DEP_4) | instskip(NEXT) | instid1(VALU_DEP_4)
	v_add_co_ci_u32_e32 v2, vcc_lo, 0, v2, vcc_lo
	v_add_co_ci_u32_e32 v3, vcc_lo, 0, v3, vcc_lo
	s_delay_alu instid0(VALU_DEP_2) | instskip(NEXT) | instid1(VALU_DEP_2)
	v_add_co_u32 v7, vcc_lo, v2, v9
	v_add_co_ci_u32_e32 v3, vcc_lo, 0, v3, vcc_lo
	s_delay_alu instid0(VALU_DEP_2) | instskip(NEXT) | instid1(VALU_DEP_2)
	v_add_co_u32 v2, vcc_lo, v7, 0
	v_add_co_ci_u32_e32 v3, vcc_lo, v3, v8, vcc_lo
.LBB56_6:                               ;   in Loop: Header=BB56_2 Depth=1
	s_or_b32 exec_lo, exec_lo, s5
	v_mov_b32_dpp v11, v6 row_shr:4 row_mask:0xf bank_mask:0xf
	v_mov_b32_dpp v10, v1 row_shr:4 row_mask:0xf bank_mask:0xf
	;; [unrolled: 1-line block ×4, first 2 shown]
	s_and_saveexec_b32 s5, s2
	s_cbranch_execz .LBB56_8
; %bb.7:                                ;   in Loop: Header=BB56_2 Depth=1
	v_add_co_u32 v6, vcc_lo, v0, v11
	v_add_co_ci_u32_e32 v1, vcc_lo, 0, v1, vcc_lo
	v_add_co_ci_u32_e32 v2, vcc_lo, 0, v2, vcc_lo
	;; [unrolled: 1-line block ×3, first 2 shown]
	s_delay_alu instid0(VALU_DEP_4) | instskip(NEXT) | instid1(VALU_DEP_4)
	v_add_co_u32 v0, vcc_lo, 0, v6
	v_add_co_ci_u32_e32 v1, vcc_lo, v10, v1, vcc_lo
	s_delay_alu instid0(VALU_DEP_4) | instskip(NEXT) | instid1(VALU_DEP_4)
	v_add_co_ci_u32_e32 v2, vcc_lo, 0, v2, vcc_lo
	v_add_co_ci_u32_e32 v3, vcc_lo, 0, v3, vcc_lo
	s_delay_alu instid0(VALU_DEP_2) | instskip(NEXT) | instid1(VALU_DEP_2)
	v_add_co_u32 v7, vcc_lo, v2, v9
	v_add_co_ci_u32_e32 v3, vcc_lo, 0, v3, vcc_lo
	s_delay_alu instid0(VALU_DEP_2) | instskip(NEXT) | instid1(VALU_DEP_2)
	v_add_co_u32 v2, vcc_lo, v7, 0
	v_add_co_ci_u32_e32 v3, vcc_lo, v3, v8, vcc_lo
.LBB56_8:                               ;   in Loop: Header=BB56_2 Depth=1
	s_or_b32 exec_lo, exec_lo, s5
	v_mov_b32_dpp v9, v6 row_shr:8 row_mask:0xf bank_mask:0xf
	v_mov_b32_dpp v8, v1 row_shr:8 row_mask:0xf bank_mask:0xf
	;; [unrolled: 1-line block ×4, first 2 shown]
	s_and_saveexec_b32 s5, s3
	s_cbranch_execz .LBB56_1
; %bb.9:                                ;   in Loop: Header=BB56_2 Depth=1
	v_add_co_u32 v0, vcc_lo, v0, v9
	v_add_co_ci_u32_e32 v1, vcc_lo, 0, v1, vcc_lo
	v_add_co_ci_u32_e32 v2, vcc_lo, 0, v2, vcc_lo
	;; [unrolled: 1-line block ×3, first 2 shown]
	s_delay_alu instid0(VALU_DEP_4) | instskip(NEXT) | instid1(VALU_DEP_4)
	v_add_co_u32 v0, vcc_lo, v0, 0
	v_add_co_ci_u32_e32 v1, vcc_lo, v1, v8, vcc_lo
	s_delay_alu instid0(VALU_DEP_4) | instskip(NEXT) | instid1(VALU_DEP_4)
	v_add_co_ci_u32_e32 v2, vcc_lo, 0, v2, vcc_lo
	v_add_co_ci_u32_e32 v3, vcc_lo, 0, v3, vcc_lo
	s_delay_alu instid0(VALU_DEP_2) | instskip(NEXT) | instid1(VALU_DEP_2)
	v_add_co_u32 v2, vcc_lo, v2, v7
	v_add_co_ci_u32_e32 v3, vcc_lo, 0, v3, vcc_lo
	s_delay_alu instid0(VALU_DEP_2) | instskip(NEXT) | instid1(VALU_DEP_2)
	v_add_co_u32 v2, vcc_lo, v2, 0
	v_add_co_ci_u32_e32 v3, vcc_lo, v3, v6, vcc_lo
	s_branch .LBB56_1
.LBB56_10:
	v_add_co_u32 v4, vcc_lo, s6, v4
	v_add_co_ci_u32_e32 v5, vcc_lo, s7, v5, vcc_lo
	global_store_b128 v[4:5], v[0:3], off
	s_nop 0
	s_sendmsg sendmsg(MSG_DEALLOC_VGPRS)
	s_endpgm
	.section	.rodata,"a",@progbits
	.p2align	6, 0x0
	.amdhsa_kernel _Z6kernelI14inclusive_scanoLj16ELj100EEvPKT0_PS1_S1_
		.amdhsa_group_segment_fixed_size 0
		.amdhsa_private_segment_fixed_size 0
		.amdhsa_kernarg_size 288
		.amdhsa_user_sgpr_count 15
		.amdhsa_user_sgpr_dispatch_ptr 0
		.amdhsa_user_sgpr_queue_ptr 0
		.amdhsa_user_sgpr_kernarg_segment_ptr 1
		.amdhsa_user_sgpr_dispatch_id 0
		.amdhsa_user_sgpr_private_segment_size 0
		.amdhsa_wavefront_size32 1
		.amdhsa_uses_dynamic_stack 0
		.amdhsa_enable_private_segment 0
		.amdhsa_system_sgpr_workgroup_id_x 1
		.amdhsa_system_sgpr_workgroup_id_y 0
		.amdhsa_system_sgpr_workgroup_id_z 0
		.amdhsa_system_sgpr_workgroup_info 0
		.amdhsa_system_vgpr_workitem_id 0
		.amdhsa_next_free_vgpr 12
		.amdhsa_next_free_sgpr 16
		.amdhsa_reserve_vcc 1
		.amdhsa_float_round_mode_32 0
		.amdhsa_float_round_mode_16_64 0
		.amdhsa_float_denorm_mode_32 3
		.amdhsa_float_denorm_mode_16_64 3
		.amdhsa_dx10_clamp 1
		.amdhsa_ieee_mode 1
		.amdhsa_fp16_overflow 0
		.amdhsa_workgroup_processor_mode 1
		.amdhsa_memory_ordered 1
		.amdhsa_forward_progress 0
		.amdhsa_shared_vgpr_count 0
		.amdhsa_exception_fp_ieee_invalid_op 0
		.amdhsa_exception_fp_denorm_src 0
		.amdhsa_exception_fp_ieee_div_zero 0
		.amdhsa_exception_fp_ieee_overflow 0
		.amdhsa_exception_fp_ieee_underflow 0
		.amdhsa_exception_fp_ieee_inexact 0
		.amdhsa_exception_int_div_zero 0
	.end_amdhsa_kernel
	.section	.text._Z6kernelI14inclusive_scanoLj16ELj100EEvPKT0_PS1_S1_,"axG",@progbits,_Z6kernelI14inclusive_scanoLj16ELj100EEvPKT0_PS1_S1_,comdat
.Lfunc_end56:
	.size	_Z6kernelI14inclusive_scanoLj16ELj100EEvPKT0_PS1_S1_, .Lfunc_end56-_Z6kernelI14inclusive_scanoLj16ELj100EEvPKT0_PS1_S1_
                                        ; -- End function
	.section	.AMDGPU.csdata,"",@progbits
; Kernel info:
; codeLenInByte = 700
; NumSgprs: 18
; NumVgprs: 12
; ScratchSize: 0
; MemoryBound: 0
; FloatMode: 240
; IeeeMode: 1
; LDSByteSize: 0 bytes/workgroup (compile time only)
; SGPRBlocks: 2
; VGPRBlocks: 1
; NumSGPRsForWavesPerEU: 18
; NumVGPRsForWavesPerEU: 12
; Occupancy: 16
; WaveLimiterHint : 0
; COMPUTE_PGM_RSRC2:SCRATCH_EN: 0
; COMPUTE_PGM_RSRC2:USER_SGPR: 15
; COMPUTE_PGM_RSRC2:TRAP_HANDLER: 0
; COMPUTE_PGM_RSRC2:TGID_X_EN: 1
; COMPUTE_PGM_RSRC2:TGID_Y_EN: 0
; COMPUTE_PGM_RSRC2:TGID_Z_EN: 0
; COMPUTE_PGM_RSRC2:TIDIG_COMP_CNT: 0
	.section	.text._Z6kernelI14inclusive_scanoLj63ELj100EEvPKT0_PS1_S1_,"axG",@progbits,_Z6kernelI14inclusive_scanoLj63ELj100EEvPKT0_PS1_S1_,comdat
	.protected	_Z6kernelI14inclusive_scanoLj63ELj100EEvPKT0_PS1_S1_ ; -- Begin function _Z6kernelI14inclusive_scanoLj63ELj100EEvPKT0_PS1_S1_
	.globl	_Z6kernelI14inclusive_scanoLj63ELj100EEvPKT0_PS1_S1_
	.p2align	8
	.type	_Z6kernelI14inclusive_scanoLj63ELj100EEvPKT0_PS1_S1_,@function
_Z6kernelI14inclusive_scanoLj63ELj100EEvPKT0_PS1_S1_: ; @_Z6kernelI14inclusive_scanoLj63ELj100EEvPKT0_PS1_S1_
; %bb.0:
	s_clause 0x1
	s_load_b32 s4, s[0:1], 0x2c
	s_load_b128 s[0:3], s[0:1], 0x0
	s_waitcnt lgkmcnt(0)
	s_and_b32 s4, s4, 0xffff
	s_delay_alu instid0(SALU_CYCLE_1) | instskip(SKIP_1) | instid1(VALU_DEP_1)
	v_mad_u64_u32 v[1:2], null, s15, s4, v[0:1]
	v_mov_b32_e32 v2, 0
	v_lshlrev_b64 v[4:5], 4, v[1:2]
	s_delay_alu instid0(VALU_DEP_1) | instskip(NEXT) | instid1(VALU_DEP_2)
	v_add_co_u32 v0, vcc_lo, s0, v4
	v_add_co_ci_u32_e32 v1, vcc_lo, s1, v5, vcc_lo
	v_add_co_u32 v4, vcc_lo, s2, v4
	v_add_co_ci_u32_e32 v5, vcc_lo, s3, v5, vcc_lo
	global_load_b128 v[0:3], v[0:1], off
	s_waitcnt vmcnt(0)
	global_store_b128 v[4:5], v[0:3], off
	s_nop 0
	s_sendmsg sendmsg(MSG_DEALLOC_VGPRS)
	s_endpgm
	.section	.rodata,"a",@progbits
	.p2align	6, 0x0
	.amdhsa_kernel _Z6kernelI14inclusive_scanoLj63ELj100EEvPKT0_PS1_S1_
		.amdhsa_group_segment_fixed_size 0
		.amdhsa_private_segment_fixed_size 0
		.amdhsa_kernarg_size 288
		.amdhsa_user_sgpr_count 15
		.amdhsa_user_sgpr_dispatch_ptr 0
		.amdhsa_user_sgpr_queue_ptr 0
		.amdhsa_user_sgpr_kernarg_segment_ptr 1
		.amdhsa_user_sgpr_dispatch_id 0
		.amdhsa_user_sgpr_private_segment_size 0
		.amdhsa_wavefront_size32 1
		.amdhsa_uses_dynamic_stack 0
		.amdhsa_enable_private_segment 0
		.amdhsa_system_sgpr_workgroup_id_x 1
		.amdhsa_system_sgpr_workgroup_id_y 0
		.amdhsa_system_sgpr_workgroup_id_z 0
		.amdhsa_system_sgpr_workgroup_info 0
		.amdhsa_system_vgpr_workitem_id 0
		.amdhsa_next_free_vgpr 6
		.amdhsa_next_free_sgpr 16
		.amdhsa_reserve_vcc 1
		.amdhsa_float_round_mode_32 0
		.amdhsa_float_round_mode_16_64 0
		.amdhsa_float_denorm_mode_32 3
		.amdhsa_float_denorm_mode_16_64 3
		.amdhsa_dx10_clamp 1
		.amdhsa_ieee_mode 1
		.amdhsa_fp16_overflow 0
		.amdhsa_workgroup_processor_mode 1
		.amdhsa_memory_ordered 1
		.amdhsa_forward_progress 0
		.amdhsa_shared_vgpr_count 0
		.amdhsa_exception_fp_ieee_invalid_op 0
		.amdhsa_exception_fp_denorm_src 0
		.amdhsa_exception_fp_ieee_div_zero 0
		.amdhsa_exception_fp_ieee_overflow 0
		.amdhsa_exception_fp_ieee_underflow 0
		.amdhsa_exception_fp_ieee_inexact 0
		.amdhsa_exception_int_div_zero 0
	.end_amdhsa_kernel
	.section	.text._Z6kernelI14inclusive_scanoLj63ELj100EEvPKT0_PS1_S1_,"axG",@progbits,_Z6kernelI14inclusive_scanoLj63ELj100EEvPKT0_PS1_S1_,comdat
.Lfunc_end57:
	.size	_Z6kernelI14inclusive_scanoLj63ELj100EEvPKT0_PS1_S1_, .Lfunc_end57-_Z6kernelI14inclusive_scanoLj63ELj100EEvPKT0_PS1_S1_
                                        ; -- End function
	.section	.AMDGPU.csdata,"",@progbits
; Kernel info:
; codeLenInByte = 116
; NumSgprs: 18
; NumVgprs: 6
; ScratchSize: 0
; MemoryBound: 0
; FloatMode: 240
; IeeeMode: 1
; LDSByteSize: 0 bytes/workgroup (compile time only)
; SGPRBlocks: 2
; VGPRBlocks: 0
; NumSGPRsForWavesPerEU: 18
; NumVGPRsForWavesPerEU: 6
; Occupancy: 16
; WaveLimiterHint : 0
; COMPUTE_PGM_RSRC2:SCRATCH_EN: 0
; COMPUTE_PGM_RSRC2:USER_SGPR: 15
; COMPUTE_PGM_RSRC2:TRAP_HANDLER: 0
; COMPUTE_PGM_RSRC2:TGID_X_EN: 1
; COMPUTE_PGM_RSRC2:TGID_Y_EN: 0
; COMPUTE_PGM_RSRC2:TGID_Z_EN: 0
; COMPUTE_PGM_RSRC2:TIDIG_COMP_CNT: 0
	.section	.text._Z6kernelI14inclusive_scanoLj31ELj100EEvPKT0_PS1_S1_,"axG",@progbits,_Z6kernelI14inclusive_scanoLj31ELj100EEvPKT0_PS1_S1_,comdat
	.protected	_Z6kernelI14inclusive_scanoLj31ELj100EEvPKT0_PS1_S1_ ; -- Begin function _Z6kernelI14inclusive_scanoLj31ELj100EEvPKT0_PS1_S1_
	.globl	_Z6kernelI14inclusive_scanoLj31ELj100EEvPKT0_PS1_S1_
	.p2align	8
	.type	_Z6kernelI14inclusive_scanoLj31ELj100EEvPKT0_PS1_S1_,@function
_Z6kernelI14inclusive_scanoLj31ELj100EEvPKT0_PS1_S1_: ; @_Z6kernelI14inclusive_scanoLj31ELj100EEvPKT0_PS1_S1_
; %bb.0:
	s_clause 0x1
	s_load_b32 s2, s[0:1], 0x2c
	s_load_b128 s[4:7], s[0:1], 0x0
	v_mbcnt_lo_u32_b32 v6, -1, 0
	s_delay_alu instid0(VALU_DEP_1) | instskip(NEXT) | instid1(VALU_DEP_1)
	v_mul_hi_u32 v7, 0x8421085, v6
	v_mul_u32_u24_e32 v7, 31, v7
	s_delay_alu instid0(VALU_DEP_1) | instskip(SKIP_2) | instid1(SALU_CYCLE_1)
	v_sub_nc_u32_e32 v7, v6, v7
	s_waitcnt lgkmcnt(0)
	s_and_b32 s0, s2, 0xffff
	v_mad_u64_u32 v[1:2], null, s15, s0, v[0:1]
	s_delay_alu instid0(VALU_DEP_2)
	v_lshlrev_b32_e32 v6, 4, v7
	v_mov_b32_e32 v2, 0
	v_cmp_ne_u32_e64 s0, 0, v7
	v_cmp_lt_u32_e64 s1, 1, v7
	v_cmp_lt_u32_e64 s2, 3, v7
	;; [unrolled: 1-line block ×3, first 2 shown]
	v_lshlrev_b64 v[4:5], 4, v[1:2]
	v_subrev_nc_u32_e32 v8, 32, v6
	v_subrev_nc_u32_e32 v9, 64, v6
	v_add_nc_u32_e32 v10, 0xffffff80, v6
	v_add_nc_u32_e32 v11, 0xffffff00, v6
	v_add_co_u32 v0, vcc_lo, s4, v4
	v_add_co_ci_u32_e32 v1, vcc_lo, s5, v5, vcc_lo
	v_cmp_lt_u32_e64 s4, 15, v7
	v_add_nc_u32_e32 v7, -16, v6
	s_movk_i32 s5, 0x64
	global_load_b128 v[0:3], v[0:1], off
	s_branch .LBB58_2
.LBB58_1:                               ;   in Loop: Header=BB58_2 Depth=1
	s_or_b32 exec_lo, exec_lo, s8
	s_add_i32 s5, s5, -1
	s_delay_alu instid0(SALU_CYCLE_1)
	s_cmp_lg_u32 s5, 0
	; wave barrier
	s_cbranch_scc0 .LBB58_22
.LBB58_2:                               ; =>This Inner Loop Header: Depth=1
	s_waitcnt vmcnt(0)
	ds_store_b128 v6, v[0:3]
	; wave barrier
	s_and_saveexec_b32 s8, s0
	s_cbranch_execz .LBB58_4
; %bb.3:                                ;   in Loop: Header=BB58_2 Depth=1
	ds_load_b128 v[12:15], v7
	s_waitcnt lgkmcnt(0)
	v_add_co_u32 v0, vcc_lo, v12, v0
	v_add_co_ci_u32_e32 v1, vcc_lo, v13, v1, vcc_lo
	v_add_co_ci_u32_e32 v2, vcc_lo, v14, v2, vcc_lo
	;; [unrolled: 1-line block ×3, first 2 shown]
.LBB58_4:                               ;   in Loop: Header=BB58_2 Depth=1
	s_or_b32 exec_lo, exec_lo, s8
	; wave barrier
	s_and_saveexec_b32 s8, s0
	s_cbranch_execz .LBB58_6
; %bb.5:                                ;   in Loop: Header=BB58_2 Depth=1
	ds_store_b128 v6, v[0:3]
.LBB58_6:                               ;   in Loop: Header=BB58_2 Depth=1
	s_or_b32 exec_lo, exec_lo, s8
	; wave barrier
	s_and_saveexec_b32 s8, s1
	s_cbranch_execz .LBB58_8
; %bb.7:                                ;   in Loop: Header=BB58_2 Depth=1
	ds_load_b128 v[12:15], v8
	s_waitcnt lgkmcnt(0)
	v_add_co_u32 v0, vcc_lo, v12, v0
	v_add_co_ci_u32_e32 v1, vcc_lo, v13, v1, vcc_lo
	v_add_co_ci_u32_e32 v2, vcc_lo, v14, v2, vcc_lo
	;; [unrolled: 1-line block ×3, first 2 shown]
.LBB58_8:                               ;   in Loop: Header=BB58_2 Depth=1
	s_or_b32 exec_lo, exec_lo, s8
	; wave barrier
	s_and_saveexec_b32 s8, s1
	s_cbranch_execz .LBB58_10
; %bb.9:                                ;   in Loop: Header=BB58_2 Depth=1
	ds_store_b128 v6, v[0:3]
.LBB58_10:                              ;   in Loop: Header=BB58_2 Depth=1
	s_or_b32 exec_lo, exec_lo, s8
	; wave barrier
	s_and_saveexec_b32 s8, s2
	s_cbranch_execz .LBB58_12
; %bb.11:                               ;   in Loop: Header=BB58_2 Depth=1
	ds_load_b128 v[12:15], v9
	s_waitcnt lgkmcnt(0)
	v_add_co_u32 v0, vcc_lo, v12, v0
	v_add_co_ci_u32_e32 v1, vcc_lo, v13, v1, vcc_lo
	v_add_co_ci_u32_e32 v2, vcc_lo, v14, v2, vcc_lo
	;; [unrolled: 1-line block ×3, first 2 shown]
.LBB58_12:                              ;   in Loop: Header=BB58_2 Depth=1
	s_or_b32 exec_lo, exec_lo, s8
	; wave barrier
	s_and_saveexec_b32 s8, s2
	s_cbranch_execz .LBB58_14
; %bb.13:                               ;   in Loop: Header=BB58_2 Depth=1
	ds_store_b128 v6, v[0:3]
.LBB58_14:                              ;   in Loop: Header=BB58_2 Depth=1
	s_or_b32 exec_lo, exec_lo, s8
	; wave barrier
	s_and_saveexec_b32 s8, s3
	s_cbranch_execz .LBB58_16
; %bb.15:                               ;   in Loop: Header=BB58_2 Depth=1
	ds_load_b128 v[12:15], v10
	s_waitcnt lgkmcnt(0)
	v_add_co_u32 v0, vcc_lo, v12, v0
	v_add_co_ci_u32_e32 v1, vcc_lo, v13, v1, vcc_lo
	v_add_co_ci_u32_e32 v2, vcc_lo, v14, v2, vcc_lo
	;; [unrolled: 1-line block ×3, first 2 shown]
.LBB58_16:                              ;   in Loop: Header=BB58_2 Depth=1
	s_or_b32 exec_lo, exec_lo, s8
	; wave barrier
	s_and_saveexec_b32 s8, s3
	s_cbranch_execz .LBB58_18
; %bb.17:                               ;   in Loop: Header=BB58_2 Depth=1
	ds_store_b128 v6, v[0:3]
.LBB58_18:                              ;   in Loop: Header=BB58_2 Depth=1
	s_or_b32 exec_lo, exec_lo, s8
	; wave barrier
	s_and_saveexec_b32 s8, s4
	s_cbranch_execz .LBB58_20
; %bb.19:                               ;   in Loop: Header=BB58_2 Depth=1
	ds_load_b128 v[12:15], v11
	s_waitcnt lgkmcnt(0)
	v_add_co_u32 v0, vcc_lo, v12, v0
	v_add_co_ci_u32_e32 v1, vcc_lo, v13, v1, vcc_lo
	v_add_co_ci_u32_e32 v2, vcc_lo, v14, v2, vcc_lo
	v_add_co_ci_u32_e32 v3, vcc_lo, v15, v3, vcc_lo
.LBB58_20:                              ;   in Loop: Header=BB58_2 Depth=1
	s_or_b32 exec_lo, exec_lo, s8
	; wave barrier
	s_and_saveexec_b32 s8, s4
	s_cbranch_execz .LBB58_1
; %bb.21:                               ;   in Loop: Header=BB58_2 Depth=1
	ds_store_b128 v6, v[0:3]
	s_branch .LBB58_1
.LBB58_22:
	v_add_co_u32 v4, vcc_lo, s6, v4
	v_add_co_ci_u32_e32 v5, vcc_lo, s7, v5, vcc_lo
	global_store_b128 v[4:5], v[0:3], off
	s_nop 0
	s_sendmsg sendmsg(MSG_DEALLOC_VGPRS)
	s_endpgm
	.section	.rodata,"a",@progbits
	.p2align	6, 0x0
	.amdhsa_kernel _Z6kernelI14inclusive_scanoLj31ELj100EEvPKT0_PS1_S1_
		.amdhsa_group_segment_fixed_size 496
		.amdhsa_private_segment_fixed_size 0
		.amdhsa_kernarg_size 288
		.amdhsa_user_sgpr_count 15
		.amdhsa_user_sgpr_dispatch_ptr 0
		.amdhsa_user_sgpr_queue_ptr 0
		.amdhsa_user_sgpr_kernarg_segment_ptr 1
		.amdhsa_user_sgpr_dispatch_id 0
		.amdhsa_user_sgpr_private_segment_size 0
		.amdhsa_wavefront_size32 1
		.amdhsa_uses_dynamic_stack 0
		.amdhsa_enable_private_segment 0
		.amdhsa_system_sgpr_workgroup_id_x 1
		.amdhsa_system_sgpr_workgroup_id_y 0
		.amdhsa_system_sgpr_workgroup_id_z 0
		.amdhsa_system_sgpr_workgroup_info 0
		.amdhsa_system_vgpr_workitem_id 0
		.amdhsa_next_free_vgpr 16
		.amdhsa_next_free_sgpr 16
		.amdhsa_reserve_vcc 1
		.amdhsa_float_round_mode_32 0
		.amdhsa_float_round_mode_16_64 0
		.amdhsa_float_denorm_mode_32 3
		.amdhsa_float_denorm_mode_16_64 3
		.amdhsa_dx10_clamp 1
		.amdhsa_ieee_mode 1
		.amdhsa_fp16_overflow 0
		.amdhsa_workgroup_processor_mode 1
		.amdhsa_memory_ordered 1
		.amdhsa_forward_progress 0
		.amdhsa_shared_vgpr_count 0
		.amdhsa_exception_fp_ieee_invalid_op 0
		.amdhsa_exception_fp_denorm_src 0
		.amdhsa_exception_fp_ieee_div_zero 0
		.amdhsa_exception_fp_ieee_overflow 0
		.amdhsa_exception_fp_ieee_underflow 0
		.amdhsa_exception_fp_ieee_inexact 0
		.amdhsa_exception_int_div_zero 0
	.end_amdhsa_kernel
	.section	.text._Z6kernelI14inclusive_scanoLj31ELj100EEvPKT0_PS1_S1_,"axG",@progbits,_Z6kernelI14inclusive_scanoLj31ELj100EEvPKT0_PS1_S1_,comdat
.Lfunc_end58:
	.size	_Z6kernelI14inclusive_scanoLj31ELj100EEvPKT0_PS1_S1_, .Lfunc_end58-_Z6kernelI14inclusive_scanoLj31ELj100EEvPKT0_PS1_S1_
                                        ; -- End function
	.section	.AMDGPU.csdata,"",@progbits
; Kernel info:
; codeLenInByte = 576
; NumSgprs: 18
; NumVgprs: 16
; ScratchSize: 0
; MemoryBound: 0
; FloatMode: 240
; IeeeMode: 1
; LDSByteSize: 496 bytes/workgroup (compile time only)
; SGPRBlocks: 2
; VGPRBlocks: 1
; NumSGPRsForWavesPerEU: 18
; NumVGPRsForWavesPerEU: 16
; Occupancy: 16
; WaveLimiterHint : 0
; COMPUTE_PGM_RSRC2:SCRATCH_EN: 0
; COMPUTE_PGM_RSRC2:USER_SGPR: 15
; COMPUTE_PGM_RSRC2:TRAP_HANDLER: 0
; COMPUTE_PGM_RSRC2:TGID_X_EN: 1
; COMPUTE_PGM_RSRC2:TGID_Y_EN: 0
; COMPUTE_PGM_RSRC2:TGID_Z_EN: 0
; COMPUTE_PGM_RSRC2:TIDIG_COMP_CNT: 0
	.section	.text._Z6kernelI14inclusive_scanoLj15ELj100EEvPKT0_PS1_S1_,"axG",@progbits,_Z6kernelI14inclusive_scanoLj15ELj100EEvPKT0_PS1_S1_,comdat
	.protected	_Z6kernelI14inclusive_scanoLj15ELj100EEvPKT0_PS1_S1_ ; -- Begin function _Z6kernelI14inclusive_scanoLj15ELj100EEvPKT0_PS1_S1_
	.globl	_Z6kernelI14inclusive_scanoLj15ELj100EEvPKT0_PS1_S1_
	.p2align	8
	.type	_Z6kernelI14inclusive_scanoLj15ELj100EEvPKT0_PS1_S1_,@function
_Z6kernelI14inclusive_scanoLj15ELj100EEvPKT0_PS1_S1_: ; @_Z6kernelI14inclusive_scanoLj15ELj100EEvPKT0_PS1_S1_
; %bb.0:
	s_clause 0x1
	s_load_b32 s2, s[0:1], 0x2c
	s_load_b128 s[4:7], s[0:1], 0x0
	v_mbcnt_lo_u32_b32 v6, -1, 0
	s_delay_alu instid0(VALU_DEP_1) | instskip(NEXT) | instid1(VALU_DEP_1)
	v_mul_hi_u32 v7, 0x11111112, v6
	v_mul_u32_u24_e32 v7, 15, v7
	s_delay_alu instid0(VALU_DEP_1) | instskip(SKIP_2) | instid1(SALU_CYCLE_1)
	v_sub_nc_u32_e32 v7, v6, v7
	s_waitcnt lgkmcnt(0)
	s_and_b32 s0, s2, 0xffff
	v_mad_u64_u32 v[1:2], null, s15, s0, v[0:1]
	s_delay_alu instid0(VALU_DEP_2)
	v_lshlrev_b32_e32 v6, 4, v7
	v_mov_b32_e32 v2, 0
	v_cmp_ne_u32_e64 s0, 0, v7
	v_cmp_lt_u32_e64 s1, 1, v7
	v_cmp_lt_u32_e64 s2, 3, v7
	;; [unrolled: 1-line block ×3, first 2 shown]
	v_add_nc_u32_e32 v7, -16, v6
	v_lshlrev_b64 v[4:5], 4, v[1:2]
	v_subrev_nc_u32_e32 v8, 32, v6
	v_subrev_nc_u32_e32 v9, 64, v6
	v_add_nc_u32_e32 v10, 0xffffff80, v6
	s_delay_alu instid0(VALU_DEP_4)
	v_add_co_u32 v0, vcc_lo, s4, v4
	v_add_co_ci_u32_e32 v1, vcc_lo, s5, v5, vcc_lo
	s_movk_i32 s4, 0x64
	global_load_b128 v[0:3], v[0:1], off
	s_branch .LBB59_2
.LBB59_1:                               ;   in Loop: Header=BB59_2 Depth=1
	s_or_b32 exec_lo, exec_lo, s5
	s_add_i32 s4, s4, -1
	s_delay_alu instid0(SALU_CYCLE_1)
	s_cmp_lg_u32 s4, 0
	; wave barrier
	s_cbranch_scc0 .LBB59_18
.LBB59_2:                               ; =>This Inner Loop Header: Depth=1
	s_waitcnt vmcnt(0)
	ds_store_b128 v6, v[0:3]
	; wave barrier
	s_and_saveexec_b32 s5, s0
	s_cbranch_execz .LBB59_4
; %bb.3:                                ;   in Loop: Header=BB59_2 Depth=1
	ds_load_b128 v[11:14], v7
	s_waitcnt lgkmcnt(0)
	v_add_co_u32 v0, vcc_lo, v11, v0
	v_add_co_ci_u32_e32 v1, vcc_lo, v12, v1, vcc_lo
	v_add_co_ci_u32_e32 v2, vcc_lo, v13, v2, vcc_lo
	;; [unrolled: 1-line block ×3, first 2 shown]
.LBB59_4:                               ;   in Loop: Header=BB59_2 Depth=1
	s_or_b32 exec_lo, exec_lo, s5
	; wave barrier
	s_and_saveexec_b32 s5, s0
	s_cbranch_execz .LBB59_6
; %bb.5:                                ;   in Loop: Header=BB59_2 Depth=1
	ds_store_b128 v6, v[0:3]
.LBB59_6:                               ;   in Loop: Header=BB59_2 Depth=1
	s_or_b32 exec_lo, exec_lo, s5
	; wave barrier
	s_and_saveexec_b32 s5, s1
	s_cbranch_execz .LBB59_8
; %bb.7:                                ;   in Loop: Header=BB59_2 Depth=1
	ds_load_b128 v[11:14], v8
	s_waitcnt lgkmcnt(0)
	v_add_co_u32 v0, vcc_lo, v11, v0
	v_add_co_ci_u32_e32 v1, vcc_lo, v12, v1, vcc_lo
	v_add_co_ci_u32_e32 v2, vcc_lo, v13, v2, vcc_lo
	;; [unrolled: 1-line block ×3, first 2 shown]
.LBB59_8:                               ;   in Loop: Header=BB59_2 Depth=1
	s_or_b32 exec_lo, exec_lo, s5
	; wave barrier
	s_and_saveexec_b32 s5, s1
	s_cbranch_execz .LBB59_10
; %bb.9:                                ;   in Loop: Header=BB59_2 Depth=1
	ds_store_b128 v6, v[0:3]
.LBB59_10:                              ;   in Loop: Header=BB59_2 Depth=1
	s_or_b32 exec_lo, exec_lo, s5
	; wave barrier
	s_and_saveexec_b32 s5, s2
	s_cbranch_execz .LBB59_12
; %bb.11:                               ;   in Loop: Header=BB59_2 Depth=1
	ds_load_b128 v[11:14], v9
	s_waitcnt lgkmcnt(0)
	v_add_co_u32 v0, vcc_lo, v11, v0
	v_add_co_ci_u32_e32 v1, vcc_lo, v12, v1, vcc_lo
	v_add_co_ci_u32_e32 v2, vcc_lo, v13, v2, vcc_lo
	;; [unrolled: 1-line block ×3, first 2 shown]
.LBB59_12:                              ;   in Loop: Header=BB59_2 Depth=1
	s_or_b32 exec_lo, exec_lo, s5
	; wave barrier
	s_and_saveexec_b32 s5, s2
	s_cbranch_execz .LBB59_14
; %bb.13:                               ;   in Loop: Header=BB59_2 Depth=1
	ds_store_b128 v6, v[0:3]
.LBB59_14:                              ;   in Loop: Header=BB59_2 Depth=1
	s_or_b32 exec_lo, exec_lo, s5
	; wave barrier
	s_and_saveexec_b32 s5, s3
	s_cbranch_execz .LBB59_16
; %bb.15:                               ;   in Loop: Header=BB59_2 Depth=1
	ds_load_b128 v[11:14], v10
	s_waitcnt lgkmcnt(0)
	v_add_co_u32 v0, vcc_lo, v11, v0
	v_add_co_ci_u32_e32 v1, vcc_lo, v12, v1, vcc_lo
	v_add_co_ci_u32_e32 v2, vcc_lo, v13, v2, vcc_lo
	;; [unrolled: 1-line block ×3, first 2 shown]
.LBB59_16:                              ;   in Loop: Header=BB59_2 Depth=1
	s_or_b32 exec_lo, exec_lo, s5
	; wave barrier
	s_and_saveexec_b32 s5, s3
	s_cbranch_execz .LBB59_1
; %bb.17:                               ;   in Loop: Header=BB59_2 Depth=1
	ds_store_b128 v6, v[0:3]
	s_branch .LBB59_1
.LBB59_18:
	v_add_co_u32 v4, vcc_lo, s6, v4
	v_add_co_ci_u32_e32 v5, vcc_lo, s7, v5, vcc_lo
	global_store_b128 v[4:5], v[0:3], off
	s_nop 0
	s_sendmsg sendmsg(MSG_DEALLOC_VGPRS)
	s_endpgm
	.section	.rodata,"a",@progbits
	.p2align	6, 0x0
	.amdhsa_kernel _Z6kernelI14inclusive_scanoLj15ELj100EEvPKT0_PS1_S1_
		.amdhsa_group_segment_fixed_size 240
		.amdhsa_private_segment_fixed_size 0
		.amdhsa_kernarg_size 288
		.amdhsa_user_sgpr_count 15
		.amdhsa_user_sgpr_dispatch_ptr 0
		.amdhsa_user_sgpr_queue_ptr 0
		.amdhsa_user_sgpr_kernarg_segment_ptr 1
		.amdhsa_user_sgpr_dispatch_id 0
		.amdhsa_user_sgpr_private_segment_size 0
		.amdhsa_wavefront_size32 1
		.amdhsa_uses_dynamic_stack 0
		.amdhsa_enable_private_segment 0
		.amdhsa_system_sgpr_workgroup_id_x 1
		.amdhsa_system_sgpr_workgroup_id_y 0
		.amdhsa_system_sgpr_workgroup_id_z 0
		.amdhsa_system_sgpr_workgroup_info 0
		.amdhsa_system_vgpr_workitem_id 0
		.amdhsa_next_free_vgpr 15
		.amdhsa_next_free_sgpr 16
		.amdhsa_reserve_vcc 1
		.amdhsa_float_round_mode_32 0
		.amdhsa_float_round_mode_16_64 0
		.amdhsa_float_denorm_mode_32 3
		.amdhsa_float_denorm_mode_16_64 3
		.amdhsa_dx10_clamp 1
		.amdhsa_ieee_mode 1
		.amdhsa_fp16_overflow 0
		.amdhsa_workgroup_processor_mode 1
		.amdhsa_memory_ordered 1
		.amdhsa_forward_progress 0
		.amdhsa_shared_vgpr_count 0
		.amdhsa_exception_fp_ieee_invalid_op 0
		.amdhsa_exception_fp_denorm_src 0
		.amdhsa_exception_fp_ieee_div_zero 0
		.amdhsa_exception_fp_ieee_overflow 0
		.amdhsa_exception_fp_ieee_underflow 0
		.amdhsa_exception_fp_ieee_inexact 0
		.amdhsa_exception_int_div_zero 0
	.end_amdhsa_kernel
	.section	.text._Z6kernelI14inclusive_scanoLj15ELj100EEvPKT0_PS1_S1_,"axG",@progbits,_Z6kernelI14inclusive_scanoLj15ELj100EEvPKT0_PS1_S1_,comdat
.Lfunc_end59:
	.size	_Z6kernelI14inclusive_scanoLj15ELj100EEvPKT0_PS1_S1_, .Lfunc_end59-_Z6kernelI14inclusive_scanoLj15ELj100EEvPKT0_PS1_S1_
                                        ; -- End function
	.section	.AMDGPU.csdata,"",@progbits
; Kernel info:
; codeLenInByte = 500
; NumSgprs: 18
; NumVgprs: 15
; ScratchSize: 0
; MemoryBound: 0
; FloatMode: 240
; IeeeMode: 1
; LDSByteSize: 240 bytes/workgroup (compile time only)
; SGPRBlocks: 2
; VGPRBlocks: 1
; NumSGPRsForWavesPerEU: 18
; NumVGPRsForWavesPerEU: 15
; Occupancy: 16
; WaveLimiterHint : 0
; COMPUTE_PGM_RSRC2:SCRATCH_EN: 0
; COMPUTE_PGM_RSRC2:USER_SGPR: 15
; COMPUTE_PGM_RSRC2:TRAP_HANDLER: 0
; COMPUTE_PGM_RSRC2:TGID_X_EN: 1
; COMPUTE_PGM_RSRC2:TGID_Y_EN: 0
; COMPUTE_PGM_RSRC2:TGID_Z_EN: 0
; COMPUTE_PGM_RSRC2:TIDIG_COMP_CNT: 0
	.section	.text._Z6kernelI14exclusive_scaniLj64ELj100EEvPKT0_PS1_S1_,"axG",@progbits,_Z6kernelI14exclusive_scaniLj64ELj100EEvPKT0_PS1_S1_,comdat
	.protected	_Z6kernelI14exclusive_scaniLj64ELj100EEvPKT0_PS1_S1_ ; -- Begin function _Z6kernelI14exclusive_scaniLj64ELj100EEvPKT0_PS1_S1_
	.globl	_Z6kernelI14exclusive_scaniLj64ELj100EEvPKT0_PS1_S1_
	.p2align	8
	.type	_Z6kernelI14exclusive_scaniLj64ELj100EEvPKT0_PS1_S1_,@function
_Z6kernelI14exclusive_scaniLj64ELj100EEvPKT0_PS1_S1_: ; @_Z6kernelI14exclusive_scaniLj64ELj100EEvPKT0_PS1_S1_
; %bb.0:
	s_clause 0x1
	s_load_b32 s4, s[0:1], 0x24
	s_load_b128 s[0:3], s[0:1], 0x0
	s_waitcnt lgkmcnt(0)
	s_and_b32 s4, s4, 0xffff
	s_delay_alu instid0(SALU_CYCLE_1) | instskip(SKIP_1) | instid1(VALU_DEP_1)
	v_mad_u64_u32 v[1:2], null, s15, s4, v[0:1]
	v_mov_b32_e32 v2, 0
	v_lshlrev_b64 v[0:1], 2, v[1:2]
	s_delay_alu instid0(VALU_DEP_1) | instskip(NEXT) | instid1(VALU_DEP_2)
	v_add_co_u32 v2, vcc_lo, s0, v0
	v_add_co_ci_u32_e32 v3, vcc_lo, s1, v1, vcc_lo
	v_add_co_u32 v0, vcc_lo, s2, v0
	v_add_co_ci_u32_e32 v1, vcc_lo, s3, v1, vcc_lo
	global_load_b32 v2, v[2:3], off
	s_waitcnt vmcnt(0)
	global_store_b32 v[0:1], v2, off
	s_nop 0
	s_sendmsg sendmsg(MSG_DEALLOC_VGPRS)
	s_endpgm
	.section	.rodata,"a",@progbits
	.p2align	6, 0x0
	.amdhsa_kernel _Z6kernelI14exclusive_scaniLj64ELj100EEvPKT0_PS1_S1_
		.amdhsa_group_segment_fixed_size 0
		.amdhsa_private_segment_fixed_size 0
		.amdhsa_kernarg_size 280
		.amdhsa_user_sgpr_count 15
		.amdhsa_user_sgpr_dispatch_ptr 0
		.amdhsa_user_sgpr_queue_ptr 0
		.amdhsa_user_sgpr_kernarg_segment_ptr 1
		.amdhsa_user_sgpr_dispatch_id 0
		.amdhsa_user_sgpr_private_segment_size 0
		.amdhsa_wavefront_size32 1
		.amdhsa_uses_dynamic_stack 0
		.amdhsa_enable_private_segment 0
		.amdhsa_system_sgpr_workgroup_id_x 1
		.amdhsa_system_sgpr_workgroup_id_y 0
		.amdhsa_system_sgpr_workgroup_id_z 0
		.amdhsa_system_sgpr_workgroup_info 0
		.amdhsa_system_vgpr_workitem_id 0
		.amdhsa_next_free_vgpr 4
		.amdhsa_next_free_sgpr 16
		.amdhsa_reserve_vcc 1
		.amdhsa_float_round_mode_32 0
		.amdhsa_float_round_mode_16_64 0
		.amdhsa_float_denorm_mode_32 3
		.amdhsa_float_denorm_mode_16_64 3
		.amdhsa_dx10_clamp 1
		.amdhsa_ieee_mode 1
		.amdhsa_fp16_overflow 0
		.amdhsa_workgroup_processor_mode 1
		.amdhsa_memory_ordered 1
		.amdhsa_forward_progress 0
		.amdhsa_shared_vgpr_count 0
		.amdhsa_exception_fp_ieee_invalid_op 0
		.amdhsa_exception_fp_denorm_src 0
		.amdhsa_exception_fp_ieee_div_zero 0
		.amdhsa_exception_fp_ieee_overflow 0
		.amdhsa_exception_fp_ieee_underflow 0
		.amdhsa_exception_fp_ieee_inexact 0
		.amdhsa_exception_int_div_zero 0
	.end_amdhsa_kernel
	.section	.text._Z6kernelI14exclusive_scaniLj64ELj100EEvPKT0_PS1_S1_,"axG",@progbits,_Z6kernelI14exclusive_scaniLj64ELj100EEvPKT0_PS1_S1_,comdat
.Lfunc_end60:
	.size	_Z6kernelI14exclusive_scaniLj64ELj100EEvPKT0_PS1_S1_, .Lfunc_end60-_Z6kernelI14exclusive_scaniLj64ELj100EEvPKT0_PS1_S1_
                                        ; -- End function
	.section	.AMDGPU.csdata,"",@progbits
; Kernel info:
; codeLenInByte = 116
; NumSgprs: 18
; NumVgprs: 4
; ScratchSize: 0
; MemoryBound: 0
; FloatMode: 240
; IeeeMode: 1
; LDSByteSize: 0 bytes/workgroup (compile time only)
; SGPRBlocks: 2
; VGPRBlocks: 0
; NumSGPRsForWavesPerEU: 18
; NumVGPRsForWavesPerEU: 4
; Occupancy: 16
; WaveLimiterHint : 0
; COMPUTE_PGM_RSRC2:SCRATCH_EN: 0
; COMPUTE_PGM_RSRC2:USER_SGPR: 15
; COMPUTE_PGM_RSRC2:TRAP_HANDLER: 0
; COMPUTE_PGM_RSRC2:TGID_X_EN: 1
; COMPUTE_PGM_RSRC2:TGID_Y_EN: 0
; COMPUTE_PGM_RSRC2:TGID_Z_EN: 0
; COMPUTE_PGM_RSRC2:TIDIG_COMP_CNT: 0
	.section	.text._Z6kernelI14exclusive_scaniLj32ELj100EEvPKT0_PS1_S1_,"axG",@progbits,_Z6kernelI14exclusive_scaniLj32ELj100EEvPKT0_PS1_S1_,comdat
	.protected	_Z6kernelI14exclusive_scaniLj32ELj100EEvPKT0_PS1_S1_ ; -- Begin function _Z6kernelI14exclusive_scaniLj32ELj100EEvPKT0_PS1_S1_
	.globl	_Z6kernelI14exclusive_scaniLj32ELj100EEvPKT0_PS1_S1_
	.p2align	8
	.type	_Z6kernelI14exclusive_scaniLj32ELj100EEvPKT0_PS1_S1_,@function
_Z6kernelI14exclusive_scaniLj32ELj100EEvPKT0_PS1_S1_: ; @_Z6kernelI14exclusive_scaniLj32ELj100EEvPKT0_PS1_S1_
; %bb.0:
	s_clause 0x1
	s_load_b32 s2, s[0:1], 0x24
	s_load_b128 s[4:7], s[0:1], 0x0
	v_mbcnt_lo_u32_b32 v4, -1, 0
	s_load_b32 s8, s[0:1], 0x10
	s_delay_alu instid0(VALU_DEP_1) | instskip(SKIP_1) | instid1(VALU_DEP_2)
	v_add_nc_u32_e32 v5, -1, v4
	v_and_b32_e32 v6, 16, v4
	v_cmp_gt_i32_e64 s0, 0, v5
	s_delay_alu instid0(VALU_DEP_2) | instskip(NEXT) | instid1(VALU_DEP_2)
	v_cmp_eq_u32_e64 s3, 0, v6
	v_cndmask_b32_e64 v5, v5, v4, s0
	s_waitcnt lgkmcnt(0)
	s_and_b32 s2, s2, 0xffff
	s_delay_alu instid0(SALU_CYCLE_1) | instskip(SKIP_1) | instid1(VALU_DEP_1)
	v_mad_u64_u32 v[1:2], null, s15, s2, v[0:1]
	v_mov_b32_e32 v2, 0
	v_lshlrev_b64 v[0:1], 2, v[1:2]
	s_delay_alu instid0(VALU_DEP_1) | instskip(NEXT) | instid1(VALU_DEP_2)
	v_add_co_u32 v2, vcc_lo, s4, v0
	v_add_co_ci_u32_e32 v3, vcc_lo, s5, v1, vcc_lo
	v_cmp_eq_u32_e64 s4, 0, v4
	s_movk_i32 s5, 0x64
	global_load_b32 v2, v[2:3], off
	v_and_b32_e32 v3, 15, v4
	s_delay_alu instid0(VALU_DEP_1)
	v_cmp_eq_u32_e32 vcc_lo, 0, v3
	v_cmp_lt_u32_e64 s0, 1, v3
	v_cmp_lt_u32_e64 s1, 3, v3
	;; [unrolled: 1-line block ×3, first 2 shown]
	v_lshlrev_b32_e32 v3, 2, v5
	s_set_inst_prefetch_distance 0x1
	.p2align	6
.LBB61_1:                               ; =>This Inner Loop Header: Depth=1
	s_waitcnt vmcnt(0)
	s_delay_alu instid0(VALU_DEP_1) | instskip(SKIP_1) | instid1(SALU_CYCLE_1)
	v_mov_b32_dpp v4, v2 row_shr:1 row_mask:0xf bank_mask:0xf
	s_add_i32 s5, s5, -1
	s_cmp_lg_u32 s5, 0
	s_delay_alu instid0(VALU_DEP_1) | instskip(NEXT) | instid1(VALU_DEP_1)
	v_cndmask_b32_e64 v4, v4, 0, vcc_lo
	v_add_nc_u32_e32 v2, v4, v2
	s_delay_alu instid0(VALU_DEP_1) | instskip(NEXT) | instid1(VALU_DEP_1)
	v_mov_b32_dpp v4, v2 row_shr:2 row_mask:0xf bank_mask:0xf
	v_cndmask_b32_e64 v4, 0, v4, s0
	s_delay_alu instid0(VALU_DEP_1) | instskip(NEXT) | instid1(VALU_DEP_1)
	v_add_nc_u32_e32 v2, v2, v4
	v_mov_b32_dpp v4, v2 row_shr:4 row_mask:0xf bank_mask:0xf
	s_delay_alu instid0(VALU_DEP_1) | instskip(NEXT) | instid1(VALU_DEP_1)
	v_cndmask_b32_e64 v4, 0, v4, s1
	v_add_nc_u32_e32 v2, v2, v4
	s_delay_alu instid0(VALU_DEP_1) | instskip(NEXT) | instid1(VALU_DEP_1)
	v_mov_b32_dpp v4, v2 row_shr:8 row_mask:0xf bank_mask:0xf
	v_cndmask_b32_e64 v4, 0, v4, s2
	s_delay_alu instid0(VALU_DEP_1) | instskip(SKIP_3) | instid1(VALU_DEP_1)
	v_add_nc_u32_e32 v2, v2, v4
	ds_swizzle_b32 v4, v2 offset:swizzle(BROADCAST,32,15)
	s_waitcnt lgkmcnt(0)
	v_cndmask_b32_e64 v4, v4, 0, s3
	v_add3_u32 v2, v4, s8, v2
	ds_bpermute_b32 v2, v3, v2
	s_waitcnt lgkmcnt(0)
	v_cndmask_b32_e64 v2, v2, s8, s4
	s_cbranch_scc1 .LBB61_1
; %bb.2:
	s_set_inst_prefetch_distance 0x2
	v_add_co_u32 v0, vcc_lo, s6, v0
	v_add_co_ci_u32_e32 v1, vcc_lo, s7, v1, vcc_lo
	global_store_b32 v[0:1], v2, off
	s_nop 0
	s_sendmsg sendmsg(MSG_DEALLOC_VGPRS)
	s_endpgm
	.section	.rodata,"a",@progbits
	.p2align	6, 0x0
	.amdhsa_kernel _Z6kernelI14exclusive_scaniLj32ELj100EEvPKT0_PS1_S1_
		.amdhsa_group_segment_fixed_size 0
		.amdhsa_private_segment_fixed_size 0
		.amdhsa_kernarg_size 280
		.amdhsa_user_sgpr_count 15
		.amdhsa_user_sgpr_dispatch_ptr 0
		.amdhsa_user_sgpr_queue_ptr 0
		.amdhsa_user_sgpr_kernarg_segment_ptr 1
		.amdhsa_user_sgpr_dispatch_id 0
		.amdhsa_user_sgpr_private_segment_size 0
		.amdhsa_wavefront_size32 1
		.amdhsa_uses_dynamic_stack 0
		.amdhsa_enable_private_segment 0
		.amdhsa_system_sgpr_workgroup_id_x 1
		.amdhsa_system_sgpr_workgroup_id_y 0
		.amdhsa_system_sgpr_workgroup_id_z 0
		.amdhsa_system_sgpr_workgroup_info 0
		.amdhsa_system_vgpr_workitem_id 0
		.amdhsa_next_free_vgpr 7
		.amdhsa_next_free_sgpr 16
		.amdhsa_reserve_vcc 1
		.amdhsa_float_round_mode_32 0
		.amdhsa_float_round_mode_16_64 0
		.amdhsa_float_denorm_mode_32 3
		.amdhsa_float_denorm_mode_16_64 3
		.amdhsa_dx10_clamp 1
		.amdhsa_ieee_mode 1
		.amdhsa_fp16_overflow 0
		.amdhsa_workgroup_processor_mode 1
		.amdhsa_memory_ordered 1
		.amdhsa_forward_progress 0
		.amdhsa_shared_vgpr_count 0
		.amdhsa_exception_fp_ieee_invalid_op 0
		.amdhsa_exception_fp_denorm_src 0
		.amdhsa_exception_fp_ieee_div_zero 0
		.amdhsa_exception_fp_ieee_overflow 0
		.amdhsa_exception_fp_ieee_underflow 0
		.amdhsa_exception_fp_ieee_inexact 0
		.amdhsa_exception_int_div_zero 0
	.end_amdhsa_kernel
	.section	.text._Z6kernelI14exclusive_scaniLj32ELj100EEvPKT0_PS1_S1_,"axG",@progbits,_Z6kernelI14exclusive_scaniLj32ELj100EEvPKT0_PS1_S1_,comdat
.Lfunc_end61:
	.size	_Z6kernelI14exclusive_scaniLj32ELj100EEvPKT0_PS1_S1_, .Lfunc_end61-_Z6kernelI14exclusive_scaniLj32ELj100EEvPKT0_PS1_S1_
                                        ; -- End function
	.section	.AMDGPU.csdata,"",@progbits
; Kernel info:
; codeLenInByte = 400
; NumSgprs: 18
; NumVgprs: 7
; ScratchSize: 0
; MemoryBound: 0
; FloatMode: 240
; IeeeMode: 1
; LDSByteSize: 0 bytes/workgroup (compile time only)
; SGPRBlocks: 2
; VGPRBlocks: 0
; NumSGPRsForWavesPerEU: 18
; NumVGPRsForWavesPerEU: 7
; Occupancy: 16
; WaveLimiterHint : 0
; COMPUTE_PGM_RSRC2:SCRATCH_EN: 0
; COMPUTE_PGM_RSRC2:USER_SGPR: 15
; COMPUTE_PGM_RSRC2:TRAP_HANDLER: 0
; COMPUTE_PGM_RSRC2:TGID_X_EN: 1
; COMPUTE_PGM_RSRC2:TGID_Y_EN: 0
; COMPUTE_PGM_RSRC2:TGID_Z_EN: 0
; COMPUTE_PGM_RSRC2:TIDIG_COMP_CNT: 0
	.section	.text._Z6kernelI14exclusive_scaniLj16ELj100EEvPKT0_PS1_S1_,"axG",@progbits,_Z6kernelI14exclusive_scaniLj16ELj100EEvPKT0_PS1_S1_,comdat
	.protected	_Z6kernelI14exclusive_scaniLj16ELj100EEvPKT0_PS1_S1_ ; -- Begin function _Z6kernelI14exclusive_scaniLj16ELj100EEvPKT0_PS1_S1_
	.globl	_Z6kernelI14exclusive_scaniLj16ELj100EEvPKT0_PS1_S1_
	.p2align	8
	.type	_Z6kernelI14exclusive_scaniLj16ELj100EEvPKT0_PS1_S1_,@function
_Z6kernelI14exclusive_scaniLj16ELj100EEvPKT0_PS1_S1_: ; @_Z6kernelI14exclusive_scaniLj16ELj100EEvPKT0_PS1_S1_
; %bb.0:
	s_clause 0x2
	s_load_b32 s2, s[0:1], 0x24
	s_load_b128 s[4:7], s[0:1], 0x0
	s_load_b32 s3, s[0:1], 0x10
	s_waitcnt lgkmcnt(0)
	s_and_b32 s2, s2, 0xffff
	s_delay_alu instid0(SALU_CYCLE_1) | instskip(SKIP_1) | instid1(VALU_DEP_1)
	v_mad_u64_u32 v[1:2], null, s15, s2, v[0:1]
	v_mov_b32_e32 v2, 0
	v_lshlrev_b64 v[0:1], 2, v[1:2]
	s_delay_alu instid0(VALU_DEP_1) | instskip(NEXT) | instid1(VALU_DEP_2)
	v_add_co_u32 v2, vcc_lo, s4, v0
	v_add_co_ci_u32_e32 v3, vcc_lo, s5, v1, vcc_lo
	s_movk_i32 s4, 0x64
	global_load_b32 v2, v[2:3], off
	v_mbcnt_lo_u32_b32 v3, -1, 0
	s_delay_alu instid0(VALU_DEP_1) | instskip(SKIP_2) | instid1(VALU_DEP_2)
	v_and_b32_e32 v5, 16, v3
	v_add_nc_u32_e32 v4, -1, v3
	v_and_b32_e32 v6, 15, v3
	v_cmp_lt_i32_e32 vcc_lo, v4, v5
	s_delay_alu instid0(VALU_DEP_2) | instskip(SKIP_4) | instid1(VALU_DEP_2)
	v_cmp_lt_u32_e64 s0, 1, v6
	v_cmp_lt_u32_e64 s1, 3, v6
	;; [unrolled: 1-line block ×3, first 2 shown]
	v_cndmask_b32_e32 v3, v4, v3, vcc_lo
	v_cmp_eq_u32_e32 vcc_lo, 0, v6
	v_lshlrev_b32_e32 v3, 2, v3
	.p2align	6
.LBB62_1:                               ; =>This Inner Loop Header: Depth=1
	s_waitcnt vmcnt(0)
	s_delay_alu instid0(VALU_DEP_1) | instskip(SKIP_1) | instid1(SALU_CYCLE_1)
	v_mov_b32_dpp v4, v2 row_shr:1 row_mask:0xf bank_mask:0xf
	s_add_i32 s4, s4, -1
	s_cmp_lg_u32 s4, 0
	s_delay_alu instid0(VALU_DEP_1) | instskip(NEXT) | instid1(VALU_DEP_1)
	v_cndmask_b32_e64 v4, v4, 0, vcc_lo
	v_add_nc_u32_e32 v2, v4, v2
	s_delay_alu instid0(VALU_DEP_1) | instskip(NEXT) | instid1(VALU_DEP_1)
	v_mov_b32_dpp v4, v2 row_shr:2 row_mask:0xf bank_mask:0xf
	v_cndmask_b32_e64 v4, 0, v4, s0
	s_delay_alu instid0(VALU_DEP_1) | instskip(NEXT) | instid1(VALU_DEP_1)
	v_add_nc_u32_e32 v2, v2, v4
	v_mov_b32_dpp v4, v2 row_shr:4 row_mask:0xf bank_mask:0xf
	s_delay_alu instid0(VALU_DEP_1) | instskip(NEXT) | instid1(VALU_DEP_1)
	v_cndmask_b32_e64 v4, 0, v4, s1
	v_add_nc_u32_e32 v2, v2, v4
	s_delay_alu instid0(VALU_DEP_1) | instskip(NEXT) | instid1(VALU_DEP_1)
	v_mov_b32_dpp v4, v2 row_shr:8 row_mask:0xf bank_mask:0xf
	v_cndmask_b32_e64 v4, 0, v4, s2
	s_delay_alu instid0(VALU_DEP_1)
	v_add3_u32 v2, v4, s3, v2
	ds_bpermute_b32 v2, v3, v2
	s_waitcnt lgkmcnt(0)
	v_cndmask_b32_e64 v2, v2, s3, vcc_lo
	s_cbranch_scc1 .LBB62_1
; %bb.2:
	v_add_co_u32 v0, vcc_lo, s6, v0
	v_add_co_ci_u32_e32 v1, vcc_lo, s7, v1, vcc_lo
	global_store_b32 v[0:1], v2, off
	s_nop 0
	s_sendmsg sendmsg(MSG_DEALLOC_VGPRS)
	s_endpgm
	.section	.rodata,"a",@progbits
	.p2align	6, 0x0
	.amdhsa_kernel _Z6kernelI14exclusive_scaniLj16ELj100EEvPKT0_PS1_S1_
		.amdhsa_group_segment_fixed_size 0
		.amdhsa_private_segment_fixed_size 0
		.amdhsa_kernarg_size 280
		.amdhsa_user_sgpr_count 15
		.amdhsa_user_sgpr_dispatch_ptr 0
		.amdhsa_user_sgpr_queue_ptr 0
		.amdhsa_user_sgpr_kernarg_segment_ptr 1
		.amdhsa_user_sgpr_dispatch_id 0
		.amdhsa_user_sgpr_private_segment_size 0
		.amdhsa_wavefront_size32 1
		.amdhsa_uses_dynamic_stack 0
		.amdhsa_enable_private_segment 0
		.amdhsa_system_sgpr_workgroup_id_x 1
		.amdhsa_system_sgpr_workgroup_id_y 0
		.amdhsa_system_sgpr_workgroup_id_z 0
		.amdhsa_system_sgpr_workgroup_info 0
		.amdhsa_system_vgpr_workitem_id 0
		.amdhsa_next_free_vgpr 7
		.amdhsa_next_free_sgpr 16
		.amdhsa_reserve_vcc 1
		.amdhsa_float_round_mode_32 0
		.amdhsa_float_round_mode_16_64 0
		.amdhsa_float_denorm_mode_32 3
		.amdhsa_float_denorm_mode_16_64 3
		.amdhsa_dx10_clamp 1
		.amdhsa_ieee_mode 1
		.amdhsa_fp16_overflow 0
		.amdhsa_workgroup_processor_mode 1
		.amdhsa_memory_ordered 1
		.amdhsa_forward_progress 0
		.amdhsa_shared_vgpr_count 0
		.amdhsa_exception_fp_ieee_invalid_op 0
		.amdhsa_exception_fp_denorm_src 0
		.amdhsa_exception_fp_ieee_div_zero 0
		.amdhsa_exception_fp_ieee_overflow 0
		.amdhsa_exception_fp_ieee_underflow 0
		.amdhsa_exception_fp_ieee_inexact 0
		.amdhsa_exception_int_div_zero 0
	.end_amdhsa_kernel
	.section	.text._Z6kernelI14exclusive_scaniLj16ELj100EEvPKT0_PS1_S1_,"axG",@progbits,_Z6kernelI14exclusive_scaniLj16ELj100EEvPKT0_PS1_S1_,comdat
.Lfunc_end62:
	.size	_Z6kernelI14exclusive_scaniLj16ELj100EEvPKT0_PS1_S1_, .Lfunc_end62-_Z6kernelI14exclusive_scaniLj16ELj100EEvPKT0_PS1_S1_
                                        ; -- End function
	.section	.AMDGPU.csdata,"",@progbits
; Kernel info:
; codeLenInByte = 340
; NumSgprs: 18
; NumVgprs: 7
; ScratchSize: 0
; MemoryBound: 0
; FloatMode: 240
; IeeeMode: 1
; LDSByteSize: 0 bytes/workgroup (compile time only)
; SGPRBlocks: 2
; VGPRBlocks: 0
; NumSGPRsForWavesPerEU: 18
; NumVGPRsForWavesPerEU: 7
; Occupancy: 16
; WaveLimiterHint : 0
; COMPUTE_PGM_RSRC2:SCRATCH_EN: 0
; COMPUTE_PGM_RSRC2:USER_SGPR: 15
; COMPUTE_PGM_RSRC2:TRAP_HANDLER: 0
; COMPUTE_PGM_RSRC2:TGID_X_EN: 1
; COMPUTE_PGM_RSRC2:TGID_Y_EN: 0
; COMPUTE_PGM_RSRC2:TGID_Z_EN: 0
; COMPUTE_PGM_RSRC2:TIDIG_COMP_CNT: 0
	.section	.text._Z6kernelI14exclusive_scaniLj63ELj100EEvPKT0_PS1_S1_,"axG",@progbits,_Z6kernelI14exclusive_scaniLj63ELj100EEvPKT0_PS1_S1_,comdat
	.protected	_Z6kernelI14exclusive_scaniLj63ELj100EEvPKT0_PS1_S1_ ; -- Begin function _Z6kernelI14exclusive_scaniLj63ELj100EEvPKT0_PS1_S1_
	.globl	_Z6kernelI14exclusive_scaniLj63ELj100EEvPKT0_PS1_S1_
	.p2align	8
	.type	_Z6kernelI14exclusive_scaniLj63ELj100EEvPKT0_PS1_S1_,@function
_Z6kernelI14exclusive_scaniLj63ELj100EEvPKT0_PS1_S1_: ; @_Z6kernelI14exclusive_scaniLj63ELj100EEvPKT0_PS1_S1_
; %bb.0:
	s_clause 0x1
	s_load_b32 s4, s[0:1], 0x24
	s_load_b128 s[0:3], s[0:1], 0x0
	s_waitcnt lgkmcnt(0)
	s_and_b32 s4, s4, 0xffff
	s_delay_alu instid0(SALU_CYCLE_1) | instskip(SKIP_1) | instid1(VALU_DEP_1)
	v_mad_u64_u32 v[1:2], null, s15, s4, v[0:1]
	v_mov_b32_e32 v2, 0
	v_lshlrev_b64 v[0:1], 2, v[1:2]
	s_delay_alu instid0(VALU_DEP_1) | instskip(NEXT) | instid1(VALU_DEP_2)
	v_add_co_u32 v2, vcc_lo, s0, v0
	v_add_co_ci_u32_e32 v3, vcc_lo, s1, v1, vcc_lo
	v_add_co_u32 v0, vcc_lo, s2, v0
	v_add_co_ci_u32_e32 v1, vcc_lo, s3, v1, vcc_lo
	global_load_b32 v2, v[2:3], off
	s_waitcnt vmcnt(0)
	global_store_b32 v[0:1], v2, off
	s_nop 0
	s_sendmsg sendmsg(MSG_DEALLOC_VGPRS)
	s_endpgm
	.section	.rodata,"a",@progbits
	.p2align	6, 0x0
	.amdhsa_kernel _Z6kernelI14exclusive_scaniLj63ELj100EEvPKT0_PS1_S1_
		.amdhsa_group_segment_fixed_size 0
		.amdhsa_private_segment_fixed_size 0
		.amdhsa_kernarg_size 280
		.amdhsa_user_sgpr_count 15
		.amdhsa_user_sgpr_dispatch_ptr 0
		.amdhsa_user_sgpr_queue_ptr 0
		.amdhsa_user_sgpr_kernarg_segment_ptr 1
		.amdhsa_user_sgpr_dispatch_id 0
		.amdhsa_user_sgpr_private_segment_size 0
		.amdhsa_wavefront_size32 1
		.amdhsa_uses_dynamic_stack 0
		.amdhsa_enable_private_segment 0
		.amdhsa_system_sgpr_workgroup_id_x 1
		.amdhsa_system_sgpr_workgroup_id_y 0
		.amdhsa_system_sgpr_workgroup_id_z 0
		.amdhsa_system_sgpr_workgroup_info 0
		.amdhsa_system_vgpr_workitem_id 0
		.amdhsa_next_free_vgpr 4
		.amdhsa_next_free_sgpr 16
		.amdhsa_reserve_vcc 1
		.amdhsa_float_round_mode_32 0
		.amdhsa_float_round_mode_16_64 0
		.amdhsa_float_denorm_mode_32 3
		.amdhsa_float_denorm_mode_16_64 3
		.amdhsa_dx10_clamp 1
		.amdhsa_ieee_mode 1
		.amdhsa_fp16_overflow 0
		.amdhsa_workgroup_processor_mode 1
		.amdhsa_memory_ordered 1
		.amdhsa_forward_progress 0
		.amdhsa_shared_vgpr_count 0
		.amdhsa_exception_fp_ieee_invalid_op 0
		.amdhsa_exception_fp_denorm_src 0
		.amdhsa_exception_fp_ieee_div_zero 0
		.amdhsa_exception_fp_ieee_overflow 0
		.amdhsa_exception_fp_ieee_underflow 0
		.amdhsa_exception_fp_ieee_inexact 0
		.amdhsa_exception_int_div_zero 0
	.end_amdhsa_kernel
	.section	.text._Z6kernelI14exclusive_scaniLj63ELj100EEvPKT0_PS1_S1_,"axG",@progbits,_Z6kernelI14exclusive_scaniLj63ELj100EEvPKT0_PS1_S1_,comdat
.Lfunc_end63:
	.size	_Z6kernelI14exclusive_scaniLj63ELj100EEvPKT0_PS1_S1_, .Lfunc_end63-_Z6kernelI14exclusive_scaniLj63ELj100EEvPKT0_PS1_S1_
                                        ; -- End function
	.section	.AMDGPU.csdata,"",@progbits
; Kernel info:
; codeLenInByte = 116
; NumSgprs: 18
; NumVgprs: 4
; ScratchSize: 0
; MemoryBound: 0
; FloatMode: 240
; IeeeMode: 1
; LDSByteSize: 0 bytes/workgroup (compile time only)
; SGPRBlocks: 2
; VGPRBlocks: 0
; NumSGPRsForWavesPerEU: 18
; NumVGPRsForWavesPerEU: 4
; Occupancy: 16
; WaveLimiterHint : 0
; COMPUTE_PGM_RSRC2:SCRATCH_EN: 0
; COMPUTE_PGM_RSRC2:USER_SGPR: 15
; COMPUTE_PGM_RSRC2:TRAP_HANDLER: 0
; COMPUTE_PGM_RSRC2:TGID_X_EN: 1
; COMPUTE_PGM_RSRC2:TGID_Y_EN: 0
; COMPUTE_PGM_RSRC2:TGID_Z_EN: 0
; COMPUTE_PGM_RSRC2:TIDIG_COMP_CNT: 0
	.section	.text._Z6kernelI14exclusive_scaniLj31ELj100EEvPKT0_PS1_S1_,"axG",@progbits,_Z6kernelI14exclusive_scaniLj31ELj100EEvPKT0_PS1_S1_,comdat
	.protected	_Z6kernelI14exclusive_scaniLj31ELj100EEvPKT0_PS1_S1_ ; -- Begin function _Z6kernelI14exclusive_scaniLj31ELj100EEvPKT0_PS1_S1_
	.globl	_Z6kernelI14exclusive_scaniLj31ELj100EEvPKT0_PS1_S1_
	.p2align	8
	.type	_Z6kernelI14exclusive_scaniLj31ELj100EEvPKT0_PS1_S1_,@function
_Z6kernelI14exclusive_scaniLj31ELj100EEvPKT0_PS1_S1_: ; @_Z6kernelI14exclusive_scaniLj31ELj100EEvPKT0_PS1_S1_
; %bb.0:
	s_clause 0x2
	s_load_b32 s2, s[0:1], 0x24
	s_load_b128 s[4:7], s[0:1], 0x0
	s_load_b32 s8, s[0:1], 0x10
	s_waitcnt lgkmcnt(0)
	s_and_b32 s2, s2, 0xffff
	s_delay_alu instid0(SALU_CYCLE_1) | instskip(SKIP_1) | instid1(VALU_DEP_1)
	v_mad_u64_u32 v[1:2], null, s15, s2, v[0:1]
	v_mov_b32_e32 v2, 0
	v_lshlrev_b64 v[0:1], 2, v[1:2]
	s_delay_alu instid0(VALU_DEP_1) | instskip(NEXT) | instid1(VALU_DEP_2)
	v_add_co_u32 v2, vcc_lo, s4, v0
	v_add_co_ci_u32_e32 v3, vcc_lo, s5, v1, vcc_lo
	s_movk_i32 s4, 0x64
	global_load_b32 v2, v[2:3], off
	v_mbcnt_lo_u32_b32 v3, -1, 0
	s_delay_alu instid0(VALU_DEP_1) | instskip(NEXT) | instid1(VALU_DEP_1)
	v_mul_hi_u32 v4, 0x8421085, v3
	v_mul_u32_u24_e32 v4, 31, v4
	s_delay_alu instid0(VALU_DEP_1) | instskip(NEXT) | instid1(VALU_DEP_1)
	v_sub_nc_u32_e32 v4, v3, v4
	v_lshlrev_b32_e32 v3, 2, v4
	v_cmp_ne_u32_e32 vcc_lo, 0, v4
	v_cmp_lt_u32_e64 s0, 1, v4
	v_cmp_lt_u32_e64 s1, 3, v4
	;; [unrolled: 1-line block ×4, first 2 shown]
	v_add_nc_u32_e32 v4, -4, v3
	v_add_nc_u32_e32 v5, -8, v3
	;; [unrolled: 1-line block ×3, first 2 shown]
	v_subrev_nc_u32_e32 v7, 32, v3
	v_subrev_nc_u32_e32 v8, 64, v3
	s_branch .LBB64_2
.LBB64_1:                               ;   in Loop: Header=BB64_2 Depth=1
	s_or_b32 exec_lo, exec_lo, s5
	s_add_i32 s4, s4, -1
	s_delay_alu instid0(SALU_CYCLE_1)
	s_cmp_lg_u32 s4, 0
	s_cbranch_scc0 .LBB64_24
.LBB64_2:                               ; =>This Inner Loop Header: Depth=1
	s_waitcnt vmcnt(0)
	ds_store_b32 v3, v2
	; wave barrier
	s_and_saveexec_b32 s5, vcc_lo
	s_cbranch_execz .LBB64_4
; %bb.3:                                ;   in Loop: Header=BB64_2 Depth=1
	ds_load_b32 v9, v4
	s_waitcnt lgkmcnt(0)
	v_add_nc_u32_e32 v2, v9, v2
.LBB64_4:                               ;   in Loop: Header=BB64_2 Depth=1
	s_or_b32 exec_lo, exec_lo, s5
	; wave barrier
	s_and_saveexec_b32 s5, vcc_lo
	s_cbranch_execz .LBB64_6
; %bb.5:                                ;   in Loop: Header=BB64_2 Depth=1
	ds_store_b32 v3, v2
.LBB64_6:                               ;   in Loop: Header=BB64_2 Depth=1
	s_or_b32 exec_lo, exec_lo, s5
	; wave barrier
	s_and_saveexec_b32 s5, s0
	s_cbranch_execz .LBB64_8
; %bb.7:                                ;   in Loop: Header=BB64_2 Depth=1
	ds_load_b32 v9, v5
	s_waitcnt lgkmcnt(0)
	v_add_nc_u32_e32 v2, v9, v2
.LBB64_8:                               ;   in Loop: Header=BB64_2 Depth=1
	s_or_b32 exec_lo, exec_lo, s5
	; wave barrier
	s_and_saveexec_b32 s5, s0
	s_cbranch_execz .LBB64_10
; %bb.9:                                ;   in Loop: Header=BB64_2 Depth=1
	ds_store_b32 v3, v2
.LBB64_10:                              ;   in Loop: Header=BB64_2 Depth=1
	s_or_b32 exec_lo, exec_lo, s5
	; wave barrier
	s_and_saveexec_b32 s5, s1
	s_cbranch_execz .LBB64_12
; %bb.11:                               ;   in Loop: Header=BB64_2 Depth=1
	ds_load_b32 v9, v6
	s_waitcnt lgkmcnt(0)
	v_add_nc_u32_e32 v2, v9, v2
.LBB64_12:                              ;   in Loop: Header=BB64_2 Depth=1
	s_or_b32 exec_lo, exec_lo, s5
	; wave barrier
	s_and_saveexec_b32 s5, s1
	s_cbranch_execz .LBB64_14
; %bb.13:                               ;   in Loop: Header=BB64_2 Depth=1
	ds_store_b32 v3, v2
.LBB64_14:                              ;   in Loop: Header=BB64_2 Depth=1
	s_or_b32 exec_lo, exec_lo, s5
	; wave barrier
	s_and_saveexec_b32 s5, s2
	s_cbranch_execz .LBB64_16
; %bb.15:                               ;   in Loop: Header=BB64_2 Depth=1
	ds_load_b32 v9, v7
	s_waitcnt lgkmcnt(0)
	v_add_nc_u32_e32 v2, v9, v2
.LBB64_16:                              ;   in Loop: Header=BB64_2 Depth=1
	s_or_b32 exec_lo, exec_lo, s5
	; wave barrier
	s_and_saveexec_b32 s5, s2
	s_cbranch_execz .LBB64_18
; %bb.17:                               ;   in Loop: Header=BB64_2 Depth=1
	ds_store_b32 v3, v2
.LBB64_18:                              ;   in Loop: Header=BB64_2 Depth=1
	;; [unrolled: 16-line block ×3, first 2 shown]
	s_or_b32 exec_lo, exec_lo, s5
	v_mov_b32_e32 v2, s8
	; wave barrier
	s_and_saveexec_b32 s5, vcc_lo
	s_cbranch_execz .LBB64_1
; %bb.23:                               ;   in Loop: Header=BB64_2 Depth=1
	ds_load_b32 v2, v4
	s_waitcnt lgkmcnt(0)
	v_add_nc_u32_e32 v2, s8, v2
	s_branch .LBB64_1
.LBB64_24:
	v_add_co_u32 v0, vcc_lo, s6, v0
	v_add_co_ci_u32_e32 v1, vcc_lo, s7, v1, vcc_lo
	global_store_b32 v[0:1], v2, off
	s_nop 0
	s_sendmsg sendmsg(MSG_DEALLOC_VGPRS)
	s_endpgm
	.section	.rodata,"a",@progbits
	.p2align	6, 0x0
	.amdhsa_kernel _Z6kernelI14exclusive_scaniLj31ELj100EEvPKT0_PS1_S1_
		.amdhsa_group_segment_fixed_size 124
		.amdhsa_private_segment_fixed_size 0
		.amdhsa_kernarg_size 280
		.amdhsa_user_sgpr_count 15
		.amdhsa_user_sgpr_dispatch_ptr 0
		.amdhsa_user_sgpr_queue_ptr 0
		.amdhsa_user_sgpr_kernarg_segment_ptr 1
		.amdhsa_user_sgpr_dispatch_id 0
		.amdhsa_user_sgpr_private_segment_size 0
		.amdhsa_wavefront_size32 1
		.amdhsa_uses_dynamic_stack 0
		.amdhsa_enable_private_segment 0
		.amdhsa_system_sgpr_workgroup_id_x 1
		.amdhsa_system_sgpr_workgroup_id_y 0
		.amdhsa_system_sgpr_workgroup_id_z 0
		.amdhsa_system_sgpr_workgroup_info 0
		.amdhsa_system_vgpr_workitem_id 0
		.amdhsa_next_free_vgpr 10
		.amdhsa_next_free_sgpr 16
		.amdhsa_reserve_vcc 1
		.amdhsa_float_round_mode_32 0
		.amdhsa_float_round_mode_16_64 0
		.amdhsa_float_denorm_mode_32 3
		.amdhsa_float_denorm_mode_16_64 3
		.amdhsa_dx10_clamp 1
		.amdhsa_ieee_mode 1
		.amdhsa_fp16_overflow 0
		.amdhsa_workgroup_processor_mode 1
		.amdhsa_memory_ordered 1
		.amdhsa_forward_progress 0
		.amdhsa_shared_vgpr_count 0
		.amdhsa_exception_fp_ieee_invalid_op 0
		.amdhsa_exception_fp_denorm_src 0
		.amdhsa_exception_fp_ieee_div_zero 0
		.amdhsa_exception_fp_ieee_overflow 0
		.amdhsa_exception_fp_ieee_underflow 0
		.amdhsa_exception_fp_ieee_inexact 0
		.amdhsa_exception_int_div_zero 0
	.end_amdhsa_kernel
	.section	.text._Z6kernelI14exclusive_scaniLj31ELj100EEvPKT0_PS1_S1_,"axG",@progbits,_Z6kernelI14exclusive_scaniLj31ELj100EEvPKT0_PS1_S1_,comdat
.Lfunc_end64:
	.size	_Z6kernelI14exclusive_scaniLj31ELj100EEvPKT0_PS1_S1_, .Lfunc_end64-_Z6kernelI14exclusive_scaniLj31ELj100EEvPKT0_PS1_S1_
                                        ; -- End function
	.section	.AMDGPU.csdata,"",@progbits
; Kernel info:
; codeLenInByte = 528
; NumSgprs: 18
; NumVgprs: 10
; ScratchSize: 0
; MemoryBound: 0
; FloatMode: 240
; IeeeMode: 1
; LDSByteSize: 124 bytes/workgroup (compile time only)
; SGPRBlocks: 2
; VGPRBlocks: 1
; NumSGPRsForWavesPerEU: 18
; NumVGPRsForWavesPerEU: 10
; Occupancy: 16
; WaveLimiterHint : 0
; COMPUTE_PGM_RSRC2:SCRATCH_EN: 0
; COMPUTE_PGM_RSRC2:USER_SGPR: 15
; COMPUTE_PGM_RSRC2:TRAP_HANDLER: 0
; COMPUTE_PGM_RSRC2:TGID_X_EN: 1
; COMPUTE_PGM_RSRC2:TGID_Y_EN: 0
; COMPUTE_PGM_RSRC2:TGID_Z_EN: 0
; COMPUTE_PGM_RSRC2:TIDIG_COMP_CNT: 0
	.section	.text._Z6kernelI14exclusive_scaniLj15ELj100EEvPKT0_PS1_S1_,"axG",@progbits,_Z6kernelI14exclusive_scaniLj15ELj100EEvPKT0_PS1_S1_,comdat
	.protected	_Z6kernelI14exclusive_scaniLj15ELj100EEvPKT0_PS1_S1_ ; -- Begin function _Z6kernelI14exclusive_scaniLj15ELj100EEvPKT0_PS1_S1_
	.globl	_Z6kernelI14exclusive_scaniLj15ELj100EEvPKT0_PS1_S1_
	.p2align	8
	.type	_Z6kernelI14exclusive_scaniLj15ELj100EEvPKT0_PS1_S1_,@function
_Z6kernelI14exclusive_scaniLj15ELj100EEvPKT0_PS1_S1_: ; @_Z6kernelI14exclusive_scaniLj15ELj100EEvPKT0_PS1_S1_
; %bb.0:
	s_clause 0x2
	s_load_b32 s2, s[0:1], 0x24
	s_load_b128 s[4:7], s[0:1], 0x0
	s_load_b32 s3, s[0:1], 0x10
	s_waitcnt lgkmcnt(0)
	s_and_b32 s2, s2, 0xffff
	s_delay_alu instid0(SALU_CYCLE_1) | instskip(SKIP_1) | instid1(VALU_DEP_1)
	v_mad_u64_u32 v[1:2], null, s15, s2, v[0:1]
	v_mov_b32_e32 v2, 0
	v_lshlrev_b64 v[0:1], 2, v[1:2]
	s_delay_alu instid0(VALU_DEP_1) | instskip(NEXT) | instid1(VALU_DEP_2)
	v_add_co_u32 v2, vcc_lo, s4, v0
	v_add_co_ci_u32_e32 v3, vcc_lo, s5, v1, vcc_lo
	s_movk_i32 s4, 0x64
	global_load_b32 v2, v[2:3], off
	v_mbcnt_lo_u32_b32 v3, -1, 0
	s_delay_alu instid0(VALU_DEP_1) | instskip(NEXT) | instid1(VALU_DEP_1)
	v_mul_hi_u32 v4, 0x11111112, v3
	v_mul_u32_u24_e32 v4, 15, v4
	s_delay_alu instid0(VALU_DEP_1) | instskip(NEXT) | instid1(VALU_DEP_1)
	v_sub_nc_u32_e32 v4, v3, v4
	v_lshlrev_b32_e32 v3, 2, v4
	v_cmp_ne_u32_e32 vcc_lo, 0, v4
	v_cmp_lt_u32_e64 s0, 1, v4
	v_cmp_lt_u32_e64 s1, 3, v4
	;; [unrolled: 1-line block ×3, first 2 shown]
	v_add_nc_u32_e32 v4, -4, v3
	v_add_nc_u32_e32 v5, -8, v3
	;; [unrolled: 1-line block ×3, first 2 shown]
	v_subrev_nc_u32_e32 v7, 32, v3
	s_branch .LBB65_2
.LBB65_1:                               ;   in Loop: Header=BB65_2 Depth=1
	s_or_b32 exec_lo, exec_lo, s5
	s_add_i32 s4, s4, -1
	s_delay_alu instid0(SALU_CYCLE_1)
	s_cmp_lg_u32 s4, 0
	s_cbranch_scc0 .LBB65_20
.LBB65_2:                               ; =>This Inner Loop Header: Depth=1
	s_waitcnt vmcnt(0)
	ds_store_b32 v3, v2
	; wave barrier
	s_and_saveexec_b32 s5, vcc_lo
	s_cbranch_execz .LBB65_4
; %bb.3:                                ;   in Loop: Header=BB65_2 Depth=1
	ds_load_b32 v8, v4
	s_waitcnt lgkmcnt(0)
	v_add_nc_u32_e32 v2, v8, v2
.LBB65_4:                               ;   in Loop: Header=BB65_2 Depth=1
	s_or_b32 exec_lo, exec_lo, s5
	; wave barrier
	s_and_saveexec_b32 s5, vcc_lo
	s_cbranch_execz .LBB65_6
; %bb.5:                                ;   in Loop: Header=BB65_2 Depth=1
	ds_store_b32 v3, v2
.LBB65_6:                               ;   in Loop: Header=BB65_2 Depth=1
	s_or_b32 exec_lo, exec_lo, s5
	; wave barrier
	s_and_saveexec_b32 s5, s0
	s_cbranch_execz .LBB65_8
; %bb.7:                                ;   in Loop: Header=BB65_2 Depth=1
	ds_load_b32 v8, v5
	s_waitcnt lgkmcnt(0)
	v_add_nc_u32_e32 v2, v8, v2
.LBB65_8:                               ;   in Loop: Header=BB65_2 Depth=1
	s_or_b32 exec_lo, exec_lo, s5
	; wave barrier
	s_and_saveexec_b32 s5, s0
	s_cbranch_execz .LBB65_10
; %bb.9:                                ;   in Loop: Header=BB65_2 Depth=1
	ds_store_b32 v3, v2
.LBB65_10:                              ;   in Loop: Header=BB65_2 Depth=1
	s_or_b32 exec_lo, exec_lo, s5
	; wave barrier
	s_and_saveexec_b32 s5, s1
	s_cbranch_execz .LBB65_12
; %bb.11:                               ;   in Loop: Header=BB65_2 Depth=1
	ds_load_b32 v8, v6
	s_waitcnt lgkmcnt(0)
	v_add_nc_u32_e32 v2, v8, v2
.LBB65_12:                              ;   in Loop: Header=BB65_2 Depth=1
	s_or_b32 exec_lo, exec_lo, s5
	; wave barrier
	s_and_saveexec_b32 s5, s1
	s_cbranch_execz .LBB65_14
; %bb.13:                               ;   in Loop: Header=BB65_2 Depth=1
	ds_store_b32 v3, v2
.LBB65_14:                              ;   in Loop: Header=BB65_2 Depth=1
	s_or_b32 exec_lo, exec_lo, s5
	; wave barrier
	s_and_saveexec_b32 s5, s2
	s_cbranch_execz .LBB65_16
; %bb.15:                               ;   in Loop: Header=BB65_2 Depth=1
	ds_load_b32 v8, v7
	s_waitcnt lgkmcnt(0)
	v_add_nc_u32_e32 v2, v8, v2
.LBB65_16:                              ;   in Loop: Header=BB65_2 Depth=1
	s_or_b32 exec_lo, exec_lo, s5
	; wave barrier
	s_and_saveexec_b32 s5, s2
	s_cbranch_execz .LBB65_18
; %bb.17:                               ;   in Loop: Header=BB65_2 Depth=1
	ds_store_b32 v3, v2
.LBB65_18:                              ;   in Loop: Header=BB65_2 Depth=1
	s_or_b32 exec_lo, exec_lo, s5
	v_mov_b32_e32 v2, s3
	; wave barrier
	s_and_saveexec_b32 s5, vcc_lo
	s_cbranch_execz .LBB65_1
; %bb.19:                               ;   in Loop: Header=BB65_2 Depth=1
	ds_load_b32 v2, v4
	s_waitcnt lgkmcnt(0)
	v_add_nc_u32_e32 v2, s3, v2
	s_branch .LBB65_1
.LBB65_20:
	v_add_co_u32 v0, vcc_lo, s6, v0
	v_add_co_ci_u32_e32 v1, vcc_lo, s7, v1, vcc_lo
	global_store_b32 v[0:1], v2, off
	s_nop 0
	s_sendmsg sendmsg(MSG_DEALLOC_VGPRS)
	s_endpgm
	.section	.rodata,"a",@progbits
	.p2align	6, 0x0
	.amdhsa_kernel _Z6kernelI14exclusive_scaniLj15ELj100EEvPKT0_PS1_S1_
		.amdhsa_group_segment_fixed_size 60
		.amdhsa_private_segment_fixed_size 0
		.amdhsa_kernarg_size 280
		.amdhsa_user_sgpr_count 15
		.amdhsa_user_sgpr_dispatch_ptr 0
		.amdhsa_user_sgpr_queue_ptr 0
		.amdhsa_user_sgpr_kernarg_segment_ptr 1
		.amdhsa_user_sgpr_dispatch_id 0
		.amdhsa_user_sgpr_private_segment_size 0
		.amdhsa_wavefront_size32 1
		.amdhsa_uses_dynamic_stack 0
		.amdhsa_enable_private_segment 0
		.amdhsa_system_sgpr_workgroup_id_x 1
		.amdhsa_system_sgpr_workgroup_id_y 0
		.amdhsa_system_sgpr_workgroup_id_z 0
		.amdhsa_system_sgpr_workgroup_info 0
		.amdhsa_system_vgpr_workitem_id 0
		.amdhsa_next_free_vgpr 9
		.amdhsa_next_free_sgpr 16
		.amdhsa_reserve_vcc 1
		.amdhsa_float_round_mode_32 0
		.amdhsa_float_round_mode_16_64 0
		.amdhsa_float_denorm_mode_32 3
		.amdhsa_float_denorm_mode_16_64 3
		.amdhsa_dx10_clamp 1
		.amdhsa_ieee_mode 1
		.amdhsa_fp16_overflow 0
		.amdhsa_workgroup_processor_mode 1
		.amdhsa_memory_ordered 1
		.amdhsa_forward_progress 0
		.amdhsa_shared_vgpr_count 0
		.amdhsa_exception_fp_ieee_invalid_op 0
		.amdhsa_exception_fp_denorm_src 0
		.amdhsa_exception_fp_ieee_div_zero 0
		.amdhsa_exception_fp_ieee_overflow 0
		.amdhsa_exception_fp_ieee_underflow 0
		.amdhsa_exception_fp_ieee_inexact 0
		.amdhsa_exception_int_div_zero 0
	.end_amdhsa_kernel
	.section	.text._Z6kernelI14exclusive_scaniLj15ELj100EEvPKT0_PS1_S1_,"axG",@progbits,_Z6kernelI14exclusive_scaniLj15ELj100EEvPKT0_PS1_S1_,comdat
.Lfunc_end65:
	.size	_Z6kernelI14exclusive_scaniLj15ELj100EEvPKT0_PS1_S1_, .Lfunc_end65-_Z6kernelI14exclusive_scaniLj15ELj100EEvPKT0_PS1_S1_
                                        ; -- End function
	.section	.AMDGPU.csdata,"",@progbits
; Kernel info:
; codeLenInByte = 468
; NumSgprs: 18
; NumVgprs: 9
; ScratchSize: 0
; MemoryBound: 0
; FloatMode: 240
; IeeeMode: 1
; LDSByteSize: 60 bytes/workgroup (compile time only)
; SGPRBlocks: 2
; VGPRBlocks: 1
; NumSGPRsForWavesPerEU: 18
; NumVGPRsForWavesPerEU: 9
; Occupancy: 16
; WaveLimiterHint : 0
; COMPUTE_PGM_RSRC2:SCRATCH_EN: 0
; COMPUTE_PGM_RSRC2:USER_SGPR: 15
; COMPUTE_PGM_RSRC2:TRAP_HANDLER: 0
; COMPUTE_PGM_RSRC2:TGID_X_EN: 1
; COMPUTE_PGM_RSRC2:TGID_Y_EN: 0
; COMPUTE_PGM_RSRC2:TGID_Z_EN: 0
; COMPUTE_PGM_RSRC2:TIDIG_COMP_CNT: 0
	.section	.text._Z6kernelI14exclusive_scanfLj64ELj100EEvPKT0_PS1_S1_,"axG",@progbits,_Z6kernelI14exclusive_scanfLj64ELj100EEvPKT0_PS1_S1_,comdat
	.protected	_Z6kernelI14exclusive_scanfLj64ELj100EEvPKT0_PS1_S1_ ; -- Begin function _Z6kernelI14exclusive_scanfLj64ELj100EEvPKT0_PS1_S1_
	.globl	_Z6kernelI14exclusive_scanfLj64ELj100EEvPKT0_PS1_S1_
	.p2align	8
	.type	_Z6kernelI14exclusive_scanfLj64ELj100EEvPKT0_PS1_S1_,@function
_Z6kernelI14exclusive_scanfLj64ELj100EEvPKT0_PS1_S1_: ; @_Z6kernelI14exclusive_scanfLj64ELj100EEvPKT0_PS1_S1_
; %bb.0:
	s_clause 0x1
	s_load_b32 s4, s[0:1], 0x24
	s_load_b128 s[0:3], s[0:1], 0x0
	s_waitcnt lgkmcnt(0)
	s_and_b32 s4, s4, 0xffff
	s_delay_alu instid0(SALU_CYCLE_1) | instskip(SKIP_1) | instid1(VALU_DEP_1)
	v_mad_u64_u32 v[1:2], null, s15, s4, v[0:1]
	v_mov_b32_e32 v2, 0
	v_lshlrev_b64 v[0:1], 2, v[1:2]
	s_delay_alu instid0(VALU_DEP_1) | instskip(NEXT) | instid1(VALU_DEP_2)
	v_add_co_u32 v2, vcc_lo, s0, v0
	v_add_co_ci_u32_e32 v3, vcc_lo, s1, v1, vcc_lo
	v_add_co_u32 v0, vcc_lo, s2, v0
	v_add_co_ci_u32_e32 v1, vcc_lo, s3, v1, vcc_lo
	global_load_b32 v2, v[2:3], off
	s_waitcnt vmcnt(0)
	global_store_b32 v[0:1], v2, off
	s_nop 0
	s_sendmsg sendmsg(MSG_DEALLOC_VGPRS)
	s_endpgm
	.section	.rodata,"a",@progbits
	.p2align	6, 0x0
	.amdhsa_kernel _Z6kernelI14exclusive_scanfLj64ELj100EEvPKT0_PS1_S1_
		.amdhsa_group_segment_fixed_size 0
		.amdhsa_private_segment_fixed_size 0
		.amdhsa_kernarg_size 280
		.amdhsa_user_sgpr_count 15
		.amdhsa_user_sgpr_dispatch_ptr 0
		.amdhsa_user_sgpr_queue_ptr 0
		.amdhsa_user_sgpr_kernarg_segment_ptr 1
		.amdhsa_user_sgpr_dispatch_id 0
		.amdhsa_user_sgpr_private_segment_size 0
		.amdhsa_wavefront_size32 1
		.amdhsa_uses_dynamic_stack 0
		.amdhsa_enable_private_segment 0
		.amdhsa_system_sgpr_workgroup_id_x 1
		.amdhsa_system_sgpr_workgroup_id_y 0
		.amdhsa_system_sgpr_workgroup_id_z 0
		.amdhsa_system_sgpr_workgroup_info 0
		.amdhsa_system_vgpr_workitem_id 0
		.amdhsa_next_free_vgpr 4
		.amdhsa_next_free_sgpr 16
		.amdhsa_reserve_vcc 1
		.amdhsa_float_round_mode_32 0
		.amdhsa_float_round_mode_16_64 0
		.amdhsa_float_denorm_mode_32 3
		.amdhsa_float_denorm_mode_16_64 3
		.amdhsa_dx10_clamp 1
		.amdhsa_ieee_mode 1
		.amdhsa_fp16_overflow 0
		.amdhsa_workgroup_processor_mode 1
		.amdhsa_memory_ordered 1
		.amdhsa_forward_progress 0
		.amdhsa_shared_vgpr_count 0
		.amdhsa_exception_fp_ieee_invalid_op 0
		.amdhsa_exception_fp_denorm_src 0
		.amdhsa_exception_fp_ieee_div_zero 0
		.amdhsa_exception_fp_ieee_overflow 0
		.amdhsa_exception_fp_ieee_underflow 0
		.amdhsa_exception_fp_ieee_inexact 0
		.amdhsa_exception_int_div_zero 0
	.end_amdhsa_kernel
	.section	.text._Z6kernelI14exclusive_scanfLj64ELj100EEvPKT0_PS1_S1_,"axG",@progbits,_Z6kernelI14exclusive_scanfLj64ELj100EEvPKT0_PS1_S1_,comdat
.Lfunc_end66:
	.size	_Z6kernelI14exclusive_scanfLj64ELj100EEvPKT0_PS1_S1_, .Lfunc_end66-_Z6kernelI14exclusive_scanfLj64ELj100EEvPKT0_PS1_S1_
                                        ; -- End function
	.section	.AMDGPU.csdata,"",@progbits
; Kernel info:
; codeLenInByte = 116
; NumSgprs: 18
; NumVgprs: 4
; ScratchSize: 0
; MemoryBound: 0
; FloatMode: 240
; IeeeMode: 1
; LDSByteSize: 0 bytes/workgroup (compile time only)
; SGPRBlocks: 2
; VGPRBlocks: 0
; NumSGPRsForWavesPerEU: 18
; NumVGPRsForWavesPerEU: 4
; Occupancy: 16
; WaveLimiterHint : 0
; COMPUTE_PGM_RSRC2:SCRATCH_EN: 0
; COMPUTE_PGM_RSRC2:USER_SGPR: 15
; COMPUTE_PGM_RSRC2:TRAP_HANDLER: 0
; COMPUTE_PGM_RSRC2:TGID_X_EN: 1
; COMPUTE_PGM_RSRC2:TGID_Y_EN: 0
; COMPUTE_PGM_RSRC2:TGID_Z_EN: 0
; COMPUTE_PGM_RSRC2:TIDIG_COMP_CNT: 0
	.section	.text._Z6kernelI14exclusive_scanfLj32ELj100EEvPKT0_PS1_S1_,"axG",@progbits,_Z6kernelI14exclusive_scanfLj32ELj100EEvPKT0_PS1_S1_,comdat
	.protected	_Z6kernelI14exclusive_scanfLj32ELj100EEvPKT0_PS1_S1_ ; -- Begin function _Z6kernelI14exclusive_scanfLj32ELj100EEvPKT0_PS1_S1_
	.globl	_Z6kernelI14exclusive_scanfLj32ELj100EEvPKT0_PS1_S1_
	.p2align	8
	.type	_Z6kernelI14exclusive_scanfLj32ELj100EEvPKT0_PS1_S1_,@function
_Z6kernelI14exclusive_scanfLj32ELj100EEvPKT0_PS1_S1_: ; @_Z6kernelI14exclusive_scanfLj32ELj100EEvPKT0_PS1_S1_
; %bb.0:
	s_clause 0x1
	s_load_b32 s2, s[0:1], 0x24
	s_load_b128 s[4:7], s[0:1], 0x0
	v_mbcnt_lo_u32_b32 v4, -1, 0
	s_load_b32 s8, s[0:1], 0x10
	s_delay_alu instid0(VALU_DEP_1) | instskip(SKIP_1) | instid1(VALU_DEP_2)
	v_add_nc_u32_e32 v5, -1, v4
	v_and_b32_e32 v6, 16, v4
	v_cmp_gt_i32_e64 s0, 0, v5
	s_delay_alu instid0(VALU_DEP_2) | instskip(NEXT) | instid1(VALU_DEP_2)
	v_cmp_eq_u32_e64 s3, 0, v6
	v_cndmask_b32_e64 v5, v5, v4, s0
	s_waitcnt lgkmcnt(0)
	s_and_b32 s2, s2, 0xffff
	s_delay_alu instid0(SALU_CYCLE_1) | instskip(SKIP_1) | instid1(VALU_DEP_1)
	v_mad_u64_u32 v[1:2], null, s15, s2, v[0:1]
	v_mov_b32_e32 v2, 0
	v_lshlrev_b64 v[0:1], 2, v[1:2]
	s_delay_alu instid0(VALU_DEP_1) | instskip(NEXT) | instid1(VALU_DEP_2)
	v_add_co_u32 v2, vcc_lo, s4, v0
	v_add_co_ci_u32_e32 v3, vcc_lo, s5, v1, vcc_lo
	v_cmp_eq_u32_e64 s4, 0, v4
	s_movk_i32 s5, 0x64
	global_load_b32 v2, v[2:3], off
	v_and_b32_e32 v3, 15, v4
	s_delay_alu instid0(VALU_DEP_1)
	v_cmp_eq_u32_e32 vcc_lo, 0, v3
	v_cmp_lt_u32_e64 s0, 1, v3
	v_cmp_lt_u32_e64 s1, 3, v3
	;; [unrolled: 1-line block ×3, first 2 shown]
	v_lshlrev_b32_e32 v3, 2, v5
	.p2align	6
.LBB67_1:                               ; =>This Inner Loop Header: Depth=1
	s_waitcnt vmcnt(0)
	s_delay_alu instid0(VALU_DEP_1) | instskip(SKIP_1) | instid1(SALU_CYCLE_1)
	v_mov_b32_dpp v4, v2 row_shr:1 row_mask:0xf bank_mask:0xf
	s_add_i32 s5, s5, -1
	s_cmp_lg_u32 s5, 0
	s_delay_alu instid0(VALU_DEP_1) | instskip(NEXT) | instid1(VALU_DEP_1)
	v_add_f32_e32 v4, v2, v4
	v_cndmask_b32_e32 v2, v4, v2, vcc_lo
	s_delay_alu instid0(VALU_DEP_1) | instskip(NEXT) | instid1(VALU_DEP_1)
	v_mov_b32_dpp v4, v2 row_shr:2 row_mask:0xf bank_mask:0xf
	v_add_f32_e32 v4, v2, v4
	s_delay_alu instid0(VALU_DEP_1) | instskip(NEXT) | instid1(VALU_DEP_1)
	v_cndmask_b32_e64 v2, v2, v4, s0
	v_mov_b32_dpp v4, v2 row_shr:4 row_mask:0xf bank_mask:0xf
	s_delay_alu instid0(VALU_DEP_1) | instskip(NEXT) | instid1(VALU_DEP_1)
	v_add_f32_e32 v4, v2, v4
	v_cndmask_b32_e64 v2, v2, v4, s1
	s_delay_alu instid0(VALU_DEP_1) | instskip(NEXT) | instid1(VALU_DEP_1)
	v_mov_b32_dpp v4, v2 row_shr:8 row_mask:0xf bank_mask:0xf
	v_add_f32_e32 v4, v2, v4
	s_delay_alu instid0(VALU_DEP_1) | instskip(SKIP_3) | instid1(VALU_DEP_1)
	v_cndmask_b32_e64 v2, v2, v4, s2
	ds_swizzle_b32 v4, v2 offset:swizzle(BROADCAST,32,15)
	s_waitcnt lgkmcnt(0)
	v_add_f32_e32 v4, v2, v4
	v_cndmask_b32_e64 v2, v4, v2, s3
	s_delay_alu instid0(VALU_DEP_1)
	v_add_f32_e32 v2, s8, v2
	ds_bpermute_b32 v2, v3, v2
	s_waitcnt lgkmcnt(0)
	v_cndmask_b32_e64 v2, v2, s8, s4
	s_cbranch_scc1 .LBB67_1
; %bb.2:
	v_add_co_u32 v0, vcc_lo, s6, v0
	v_add_co_ci_u32_e32 v1, vcc_lo, s7, v1, vcc_lo
	global_store_b32 v[0:1], v2, off
	s_nop 0
	s_sendmsg sendmsg(MSG_DEALLOC_VGPRS)
	s_endpgm
	.section	.rodata,"a",@progbits
	.p2align	6, 0x0
	.amdhsa_kernel _Z6kernelI14exclusive_scanfLj32ELj100EEvPKT0_PS1_S1_
		.amdhsa_group_segment_fixed_size 0
		.amdhsa_private_segment_fixed_size 0
		.amdhsa_kernarg_size 280
		.amdhsa_user_sgpr_count 15
		.amdhsa_user_sgpr_dispatch_ptr 0
		.amdhsa_user_sgpr_queue_ptr 0
		.amdhsa_user_sgpr_kernarg_segment_ptr 1
		.amdhsa_user_sgpr_dispatch_id 0
		.amdhsa_user_sgpr_private_segment_size 0
		.amdhsa_wavefront_size32 1
		.amdhsa_uses_dynamic_stack 0
		.amdhsa_enable_private_segment 0
		.amdhsa_system_sgpr_workgroup_id_x 1
		.amdhsa_system_sgpr_workgroup_id_y 0
		.amdhsa_system_sgpr_workgroup_id_z 0
		.amdhsa_system_sgpr_workgroup_info 0
		.amdhsa_system_vgpr_workitem_id 0
		.amdhsa_next_free_vgpr 7
		.amdhsa_next_free_sgpr 16
		.amdhsa_reserve_vcc 1
		.amdhsa_float_round_mode_32 0
		.amdhsa_float_round_mode_16_64 0
		.amdhsa_float_denorm_mode_32 3
		.amdhsa_float_denorm_mode_16_64 3
		.amdhsa_dx10_clamp 1
		.amdhsa_ieee_mode 1
		.amdhsa_fp16_overflow 0
		.amdhsa_workgroup_processor_mode 1
		.amdhsa_memory_ordered 1
		.amdhsa_forward_progress 0
		.amdhsa_shared_vgpr_count 0
		.amdhsa_exception_fp_ieee_invalid_op 0
		.amdhsa_exception_fp_denorm_src 0
		.amdhsa_exception_fp_ieee_div_zero 0
		.amdhsa_exception_fp_ieee_overflow 0
		.amdhsa_exception_fp_ieee_underflow 0
		.amdhsa_exception_fp_ieee_inexact 0
		.amdhsa_exception_int_div_zero 0
	.end_amdhsa_kernel
	.section	.text._Z6kernelI14exclusive_scanfLj32ELj100EEvPKT0_PS1_S1_,"axG",@progbits,_Z6kernelI14exclusive_scanfLj32ELj100EEvPKT0_PS1_S1_,comdat
.Lfunc_end67:
	.size	_Z6kernelI14exclusive_scanfLj32ELj100EEvPKT0_PS1_S1_, .Lfunc_end67-_Z6kernelI14exclusive_scanfLj32ELj100EEvPKT0_PS1_S1_
                                        ; -- End function
	.section	.AMDGPU.csdata,"",@progbits
; Kernel info:
; codeLenInByte = 392
; NumSgprs: 18
; NumVgprs: 7
; ScratchSize: 0
; MemoryBound: 0
; FloatMode: 240
; IeeeMode: 1
; LDSByteSize: 0 bytes/workgroup (compile time only)
; SGPRBlocks: 2
; VGPRBlocks: 0
; NumSGPRsForWavesPerEU: 18
; NumVGPRsForWavesPerEU: 7
; Occupancy: 16
; WaveLimiterHint : 0
; COMPUTE_PGM_RSRC2:SCRATCH_EN: 0
; COMPUTE_PGM_RSRC2:USER_SGPR: 15
; COMPUTE_PGM_RSRC2:TRAP_HANDLER: 0
; COMPUTE_PGM_RSRC2:TGID_X_EN: 1
; COMPUTE_PGM_RSRC2:TGID_Y_EN: 0
; COMPUTE_PGM_RSRC2:TGID_Z_EN: 0
; COMPUTE_PGM_RSRC2:TIDIG_COMP_CNT: 0
	.section	.text._Z6kernelI14exclusive_scanfLj16ELj100EEvPKT0_PS1_S1_,"axG",@progbits,_Z6kernelI14exclusive_scanfLj16ELj100EEvPKT0_PS1_S1_,comdat
	.protected	_Z6kernelI14exclusive_scanfLj16ELj100EEvPKT0_PS1_S1_ ; -- Begin function _Z6kernelI14exclusive_scanfLj16ELj100EEvPKT0_PS1_S1_
	.globl	_Z6kernelI14exclusive_scanfLj16ELj100EEvPKT0_PS1_S1_
	.p2align	8
	.type	_Z6kernelI14exclusive_scanfLj16ELj100EEvPKT0_PS1_S1_,@function
_Z6kernelI14exclusive_scanfLj16ELj100EEvPKT0_PS1_S1_: ; @_Z6kernelI14exclusive_scanfLj16ELj100EEvPKT0_PS1_S1_
; %bb.0:
	s_clause 0x2
	s_load_b32 s2, s[0:1], 0x24
	s_load_b128 s[4:7], s[0:1], 0x0
	s_load_b32 s3, s[0:1], 0x10
	s_waitcnt lgkmcnt(0)
	s_and_b32 s2, s2, 0xffff
	s_delay_alu instid0(SALU_CYCLE_1) | instskip(SKIP_1) | instid1(VALU_DEP_1)
	v_mad_u64_u32 v[1:2], null, s15, s2, v[0:1]
	v_mov_b32_e32 v2, 0
	v_lshlrev_b64 v[0:1], 2, v[1:2]
	s_delay_alu instid0(VALU_DEP_1) | instskip(NEXT) | instid1(VALU_DEP_2)
	v_add_co_u32 v2, vcc_lo, s4, v0
	v_add_co_ci_u32_e32 v3, vcc_lo, s5, v1, vcc_lo
	s_movk_i32 s4, 0x64
	global_load_b32 v2, v[2:3], off
	v_mbcnt_lo_u32_b32 v3, -1, 0
	s_delay_alu instid0(VALU_DEP_1) | instskip(SKIP_2) | instid1(VALU_DEP_2)
	v_and_b32_e32 v5, 16, v3
	v_add_nc_u32_e32 v4, -1, v3
	v_and_b32_e32 v6, 15, v3
	v_cmp_lt_i32_e32 vcc_lo, v4, v5
	s_delay_alu instid0(VALU_DEP_2) | instskip(SKIP_4) | instid1(VALU_DEP_2)
	v_cmp_lt_u32_e64 s0, 1, v6
	v_cmp_lt_u32_e64 s1, 3, v6
	v_cmp_lt_u32_e64 s2, 7, v6
	v_cndmask_b32_e32 v3, v4, v3, vcc_lo
	v_cmp_eq_u32_e32 vcc_lo, 0, v6
	v_lshlrev_b32_e32 v3, 2, v3
	.p2align	6
.LBB68_1:                               ; =>This Inner Loop Header: Depth=1
	s_waitcnt vmcnt(0)
	s_delay_alu instid0(VALU_DEP_1) | instskip(SKIP_1) | instid1(SALU_CYCLE_1)
	v_mov_b32_dpp v4, v2 row_shr:1 row_mask:0xf bank_mask:0xf
	s_add_i32 s4, s4, -1
	s_cmp_lg_u32 s4, 0
	s_delay_alu instid0(VALU_DEP_1) | instskip(NEXT) | instid1(VALU_DEP_1)
	v_add_f32_e32 v4, v2, v4
	v_cndmask_b32_e32 v2, v4, v2, vcc_lo
	s_delay_alu instid0(VALU_DEP_1) | instskip(NEXT) | instid1(VALU_DEP_1)
	v_mov_b32_dpp v4, v2 row_shr:2 row_mask:0xf bank_mask:0xf
	v_add_f32_e32 v4, v2, v4
	s_delay_alu instid0(VALU_DEP_1) | instskip(NEXT) | instid1(VALU_DEP_1)
	v_cndmask_b32_e64 v2, v2, v4, s0
	v_mov_b32_dpp v4, v2 row_shr:4 row_mask:0xf bank_mask:0xf
	s_delay_alu instid0(VALU_DEP_1) | instskip(NEXT) | instid1(VALU_DEP_1)
	v_add_f32_e32 v4, v2, v4
	v_cndmask_b32_e64 v2, v2, v4, s1
	s_delay_alu instid0(VALU_DEP_1) | instskip(NEXT) | instid1(VALU_DEP_1)
	v_mov_b32_dpp v4, v2 row_shr:8 row_mask:0xf bank_mask:0xf
	v_add_f32_e32 v4, v2, v4
	s_delay_alu instid0(VALU_DEP_1) | instskip(NEXT) | instid1(VALU_DEP_1)
	v_cndmask_b32_e64 v2, v2, v4, s2
	v_add_f32_e32 v2, s3, v2
	ds_bpermute_b32 v2, v3, v2
	s_waitcnt lgkmcnt(0)
	v_cndmask_b32_e64 v2, v2, s3, vcc_lo
	s_cbranch_scc1 .LBB68_1
; %bb.2:
	v_add_co_u32 v0, vcc_lo, s6, v0
	v_add_co_ci_u32_e32 v1, vcc_lo, s7, v1, vcc_lo
	global_store_b32 v[0:1], v2, off
	s_nop 0
	s_sendmsg sendmsg(MSG_DEALLOC_VGPRS)
	s_endpgm
	.section	.rodata,"a",@progbits
	.p2align	6, 0x0
	.amdhsa_kernel _Z6kernelI14exclusive_scanfLj16ELj100EEvPKT0_PS1_S1_
		.amdhsa_group_segment_fixed_size 0
		.amdhsa_private_segment_fixed_size 0
		.amdhsa_kernarg_size 280
		.amdhsa_user_sgpr_count 15
		.amdhsa_user_sgpr_dispatch_ptr 0
		.amdhsa_user_sgpr_queue_ptr 0
		.amdhsa_user_sgpr_kernarg_segment_ptr 1
		.amdhsa_user_sgpr_dispatch_id 0
		.amdhsa_user_sgpr_private_segment_size 0
		.amdhsa_wavefront_size32 1
		.amdhsa_uses_dynamic_stack 0
		.amdhsa_enable_private_segment 0
		.amdhsa_system_sgpr_workgroup_id_x 1
		.amdhsa_system_sgpr_workgroup_id_y 0
		.amdhsa_system_sgpr_workgroup_id_z 0
		.amdhsa_system_sgpr_workgroup_info 0
		.amdhsa_system_vgpr_workitem_id 0
		.amdhsa_next_free_vgpr 7
		.amdhsa_next_free_sgpr 16
		.amdhsa_reserve_vcc 1
		.amdhsa_float_round_mode_32 0
		.amdhsa_float_round_mode_16_64 0
		.amdhsa_float_denorm_mode_32 3
		.amdhsa_float_denorm_mode_16_64 3
		.amdhsa_dx10_clamp 1
		.amdhsa_ieee_mode 1
		.amdhsa_fp16_overflow 0
		.amdhsa_workgroup_processor_mode 1
		.amdhsa_memory_ordered 1
		.amdhsa_forward_progress 0
		.amdhsa_shared_vgpr_count 0
		.amdhsa_exception_fp_ieee_invalid_op 0
		.amdhsa_exception_fp_denorm_src 0
		.amdhsa_exception_fp_ieee_div_zero 0
		.amdhsa_exception_fp_ieee_overflow 0
		.amdhsa_exception_fp_ieee_underflow 0
		.amdhsa_exception_fp_ieee_inexact 0
		.amdhsa_exception_int_div_zero 0
	.end_amdhsa_kernel
	.section	.text._Z6kernelI14exclusive_scanfLj16ELj100EEvPKT0_PS1_S1_,"axG",@progbits,_Z6kernelI14exclusive_scanfLj16ELj100EEvPKT0_PS1_S1_,comdat
.Lfunc_end68:
	.size	_Z6kernelI14exclusive_scanfLj16ELj100EEvPKT0_PS1_S1_, .Lfunc_end68-_Z6kernelI14exclusive_scanfLj16ELj100EEvPKT0_PS1_S1_
                                        ; -- End function
	.section	.AMDGPU.csdata,"",@progbits
; Kernel info:
; codeLenInByte = 336
; NumSgprs: 18
; NumVgprs: 7
; ScratchSize: 0
; MemoryBound: 0
; FloatMode: 240
; IeeeMode: 1
; LDSByteSize: 0 bytes/workgroup (compile time only)
; SGPRBlocks: 2
; VGPRBlocks: 0
; NumSGPRsForWavesPerEU: 18
; NumVGPRsForWavesPerEU: 7
; Occupancy: 16
; WaveLimiterHint : 0
; COMPUTE_PGM_RSRC2:SCRATCH_EN: 0
; COMPUTE_PGM_RSRC2:USER_SGPR: 15
; COMPUTE_PGM_RSRC2:TRAP_HANDLER: 0
; COMPUTE_PGM_RSRC2:TGID_X_EN: 1
; COMPUTE_PGM_RSRC2:TGID_Y_EN: 0
; COMPUTE_PGM_RSRC2:TGID_Z_EN: 0
; COMPUTE_PGM_RSRC2:TIDIG_COMP_CNT: 0
	.section	.text._Z6kernelI14exclusive_scanfLj63ELj100EEvPKT0_PS1_S1_,"axG",@progbits,_Z6kernelI14exclusive_scanfLj63ELj100EEvPKT0_PS1_S1_,comdat
	.protected	_Z6kernelI14exclusive_scanfLj63ELj100EEvPKT0_PS1_S1_ ; -- Begin function _Z6kernelI14exclusive_scanfLj63ELj100EEvPKT0_PS1_S1_
	.globl	_Z6kernelI14exclusive_scanfLj63ELj100EEvPKT0_PS1_S1_
	.p2align	8
	.type	_Z6kernelI14exclusive_scanfLj63ELj100EEvPKT0_PS1_S1_,@function
_Z6kernelI14exclusive_scanfLj63ELj100EEvPKT0_PS1_S1_: ; @_Z6kernelI14exclusive_scanfLj63ELj100EEvPKT0_PS1_S1_
; %bb.0:
	s_clause 0x1
	s_load_b32 s4, s[0:1], 0x24
	s_load_b128 s[0:3], s[0:1], 0x0
	s_waitcnt lgkmcnt(0)
	s_and_b32 s4, s4, 0xffff
	s_delay_alu instid0(SALU_CYCLE_1) | instskip(SKIP_1) | instid1(VALU_DEP_1)
	v_mad_u64_u32 v[1:2], null, s15, s4, v[0:1]
	v_mov_b32_e32 v2, 0
	v_lshlrev_b64 v[0:1], 2, v[1:2]
	s_delay_alu instid0(VALU_DEP_1) | instskip(NEXT) | instid1(VALU_DEP_2)
	v_add_co_u32 v2, vcc_lo, s0, v0
	v_add_co_ci_u32_e32 v3, vcc_lo, s1, v1, vcc_lo
	v_add_co_u32 v0, vcc_lo, s2, v0
	v_add_co_ci_u32_e32 v1, vcc_lo, s3, v1, vcc_lo
	global_load_b32 v2, v[2:3], off
	s_waitcnt vmcnt(0)
	global_store_b32 v[0:1], v2, off
	s_nop 0
	s_sendmsg sendmsg(MSG_DEALLOC_VGPRS)
	s_endpgm
	.section	.rodata,"a",@progbits
	.p2align	6, 0x0
	.amdhsa_kernel _Z6kernelI14exclusive_scanfLj63ELj100EEvPKT0_PS1_S1_
		.amdhsa_group_segment_fixed_size 0
		.amdhsa_private_segment_fixed_size 0
		.amdhsa_kernarg_size 280
		.amdhsa_user_sgpr_count 15
		.amdhsa_user_sgpr_dispatch_ptr 0
		.amdhsa_user_sgpr_queue_ptr 0
		.amdhsa_user_sgpr_kernarg_segment_ptr 1
		.amdhsa_user_sgpr_dispatch_id 0
		.amdhsa_user_sgpr_private_segment_size 0
		.amdhsa_wavefront_size32 1
		.amdhsa_uses_dynamic_stack 0
		.amdhsa_enable_private_segment 0
		.amdhsa_system_sgpr_workgroup_id_x 1
		.amdhsa_system_sgpr_workgroup_id_y 0
		.amdhsa_system_sgpr_workgroup_id_z 0
		.amdhsa_system_sgpr_workgroup_info 0
		.amdhsa_system_vgpr_workitem_id 0
		.amdhsa_next_free_vgpr 4
		.amdhsa_next_free_sgpr 16
		.amdhsa_reserve_vcc 1
		.amdhsa_float_round_mode_32 0
		.amdhsa_float_round_mode_16_64 0
		.amdhsa_float_denorm_mode_32 3
		.amdhsa_float_denorm_mode_16_64 3
		.amdhsa_dx10_clamp 1
		.amdhsa_ieee_mode 1
		.amdhsa_fp16_overflow 0
		.amdhsa_workgroup_processor_mode 1
		.amdhsa_memory_ordered 1
		.amdhsa_forward_progress 0
		.amdhsa_shared_vgpr_count 0
		.amdhsa_exception_fp_ieee_invalid_op 0
		.amdhsa_exception_fp_denorm_src 0
		.amdhsa_exception_fp_ieee_div_zero 0
		.amdhsa_exception_fp_ieee_overflow 0
		.amdhsa_exception_fp_ieee_underflow 0
		.amdhsa_exception_fp_ieee_inexact 0
		.amdhsa_exception_int_div_zero 0
	.end_amdhsa_kernel
	.section	.text._Z6kernelI14exclusive_scanfLj63ELj100EEvPKT0_PS1_S1_,"axG",@progbits,_Z6kernelI14exclusive_scanfLj63ELj100EEvPKT0_PS1_S1_,comdat
.Lfunc_end69:
	.size	_Z6kernelI14exclusive_scanfLj63ELj100EEvPKT0_PS1_S1_, .Lfunc_end69-_Z6kernelI14exclusive_scanfLj63ELj100EEvPKT0_PS1_S1_
                                        ; -- End function
	.section	.AMDGPU.csdata,"",@progbits
; Kernel info:
; codeLenInByte = 116
; NumSgprs: 18
; NumVgprs: 4
; ScratchSize: 0
; MemoryBound: 0
; FloatMode: 240
; IeeeMode: 1
; LDSByteSize: 0 bytes/workgroup (compile time only)
; SGPRBlocks: 2
; VGPRBlocks: 0
; NumSGPRsForWavesPerEU: 18
; NumVGPRsForWavesPerEU: 4
; Occupancy: 16
; WaveLimiterHint : 0
; COMPUTE_PGM_RSRC2:SCRATCH_EN: 0
; COMPUTE_PGM_RSRC2:USER_SGPR: 15
; COMPUTE_PGM_RSRC2:TRAP_HANDLER: 0
; COMPUTE_PGM_RSRC2:TGID_X_EN: 1
; COMPUTE_PGM_RSRC2:TGID_Y_EN: 0
; COMPUTE_PGM_RSRC2:TGID_Z_EN: 0
; COMPUTE_PGM_RSRC2:TIDIG_COMP_CNT: 0
	.section	.text._Z6kernelI14exclusive_scanfLj31ELj100EEvPKT0_PS1_S1_,"axG",@progbits,_Z6kernelI14exclusive_scanfLj31ELj100EEvPKT0_PS1_S1_,comdat
	.protected	_Z6kernelI14exclusive_scanfLj31ELj100EEvPKT0_PS1_S1_ ; -- Begin function _Z6kernelI14exclusive_scanfLj31ELj100EEvPKT0_PS1_S1_
	.globl	_Z6kernelI14exclusive_scanfLj31ELj100EEvPKT0_PS1_S1_
	.p2align	8
	.type	_Z6kernelI14exclusive_scanfLj31ELj100EEvPKT0_PS1_S1_,@function
_Z6kernelI14exclusive_scanfLj31ELj100EEvPKT0_PS1_S1_: ; @_Z6kernelI14exclusive_scanfLj31ELj100EEvPKT0_PS1_S1_
; %bb.0:
	s_clause 0x2
	s_load_b32 s2, s[0:1], 0x24
	s_load_b128 s[4:7], s[0:1], 0x0
	s_load_b32 s8, s[0:1], 0x10
	s_waitcnt lgkmcnt(0)
	s_and_b32 s2, s2, 0xffff
	s_delay_alu instid0(SALU_CYCLE_1) | instskip(SKIP_1) | instid1(VALU_DEP_1)
	v_mad_u64_u32 v[1:2], null, s15, s2, v[0:1]
	v_mov_b32_e32 v2, 0
	v_lshlrev_b64 v[0:1], 2, v[1:2]
	s_delay_alu instid0(VALU_DEP_1) | instskip(NEXT) | instid1(VALU_DEP_2)
	v_add_co_u32 v2, vcc_lo, s4, v0
	v_add_co_ci_u32_e32 v3, vcc_lo, s5, v1, vcc_lo
	s_movk_i32 s4, 0x64
	global_load_b32 v2, v[2:3], off
	v_mbcnt_lo_u32_b32 v3, -1, 0
	s_delay_alu instid0(VALU_DEP_1) | instskip(NEXT) | instid1(VALU_DEP_1)
	v_mul_hi_u32 v4, 0x8421085, v3
	v_mul_u32_u24_e32 v4, 31, v4
	s_delay_alu instid0(VALU_DEP_1) | instskip(NEXT) | instid1(VALU_DEP_1)
	v_sub_nc_u32_e32 v4, v3, v4
	v_lshlrev_b32_e32 v3, 2, v4
	v_cmp_ne_u32_e32 vcc_lo, 0, v4
	v_cmp_lt_u32_e64 s0, 1, v4
	v_cmp_lt_u32_e64 s1, 3, v4
	;; [unrolled: 1-line block ×4, first 2 shown]
	v_add_nc_u32_e32 v4, -4, v3
	v_add_nc_u32_e32 v5, -8, v3
	;; [unrolled: 1-line block ×3, first 2 shown]
	v_subrev_nc_u32_e32 v7, 32, v3
	v_subrev_nc_u32_e32 v8, 64, v3
	s_branch .LBB70_2
.LBB70_1:                               ;   in Loop: Header=BB70_2 Depth=1
	s_or_b32 exec_lo, exec_lo, s5
	s_add_i32 s4, s4, -1
	s_delay_alu instid0(SALU_CYCLE_1)
	s_cmp_lg_u32 s4, 0
	s_cbranch_scc0 .LBB70_24
.LBB70_2:                               ; =>This Inner Loop Header: Depth=1
	s_waitcnt vmcnt(0)
	ds_store_b32 v3, v2
	; wave barrier
	s_and_saveexec_b32 s5, vcc_lo
	s_cbranch_execz .LBB70_4
; %bb.3:                                ;   in Loop: Header=BB70_2 Depth=1
	ds_load_b32 v9, v4
	s_waitcnt lgkmcnt(0)
	v_add_f32_e32 v2, v2, v9
.LBB70_4:                               ;   in Loop: Header=BB70_2 Depth=1
	s_or_b32 exec_lo, exec_lo, s5
	; wave barrier
	s_and_saveexec_b32 s5, vcc_lo
	s_cbranch_execz .LBB70_6
; %bb.5:                                ;   in Loop: Header=BB70_2 Depth=1
	ds_store_b32 v3, v2
.LBB70_6:                               ;   in Loop: Header=BB70_2 Depth=1
	s_or_b32 exec_lo, exec_lo, s5
	; wave barrier
	s_and_saveexec_b32 s5, s0
	s_cbranch_execz .LBB70_8
; %bb.7:                                ;   in Loop: Header=BB70_2 Depth=1
	ds_load_b32 v9, v5
	s_waitcnt lgkmcnt(0)
	v_add_f32_e32 v2, v2, v9
.LBB70_8:                               ;   in Loop: Header=BB70_2 Depth=1
	s_or_b32 exec_lo, exec_lo, s5
	; wave barrier
	s_and_saveexec_b32 s5, s0
	s_cbranch_execz .LBB70_10
; %bb.9:                                ;   in Loop: Header=BB70_2 Depth=1
	ds_store_b32 v3, v2
.LBB70_10:                              ;   in Loop: Header=BB70_2 Depth=1
	s_or_b32 exec_lo, exec_lo, s5
	; wave barrier
	s_and_saveexec_b32 s5, s1
	s_cbranch_execz .LBB70_12
; %bb.11:                               ;   in Loop: Header=BB70_2 Depth=1
	ds_load_b32 v9, v6
	s_waitcnt lgkmcnt(0)
	v_add_f32_e32 v2, v2, v9
.LBB70_12:                              ;   in Loop: Header=BB70_2 Depth=1
	s_or_b32 exec_lo, exec_lo, s5
	; wave barrier
	s_and_saveexec_b32 s5, s1
	s_cbranch_execz .LBB70_14
; %bb.13:                               ;   in Loop: Header=BB70_2 Depth=1
	ds_store_b32 v3, v2
.LBB70_14:                              ;   in Loop: Header=BB70_2 Depth=1
	s_or_b32 exec_lo, exec_lo, s5
	; wave barrier
	s_and_saveexec_b32 s5, s2
	s_cbranch_execz .LBB70_16
; %bb.15:                               ;   in Loop: Header=BB70_2 Depth=1
	ds_load_b32 v9, v7
	s_waitcnt lgkmcnt(0)
	v_add_f32_e32 v2, v2, v9
.LBB70_16:                              ;   in Loop: Header=BB70_2 Depth=1
	s_or_b32 exec_lo, exec_lo, s5
	; wave barrier
	s_and_saveexec_b32 s5, s2
	s_cbranch_execz .LBB70_18
; %bb.17:                               ;   in Loop: Header=BB70_2 Depth=1
	ds_store_b32 v3, v2
.LBB70_18:                              ;   in Loop: Header=BB70_2 Depth=1
	;; [unrolled: 16-line block ×3, first 2 shown]
	s_or_b32 exec_lo, exec_lo, s5
	v_mov_b32_e32 v2, s8
	; wave barrier
	s_and_saveexec_b32 s5, vcc_lo
	s_cbranch_execz .LBB70_1
; %bb.23:                               ;   in Loop: Header=BB70_2 Depth=1
	ds_load_b32 v2, v4
	s_waitcnt lgkmcnt(0)
	v_add_f32_e32 v2, s8, v2
	s_branch .LBB70_1
.LBB70_24:
	v_add_co_u32 v0, vcc_lo, s6, v0
	v_add_co_ci_u32_e32 v1, vcc_lo, s7, v1, vcc_lo
	global_store_b32 v[0:1], v2, off
	s_nop 0
	s_sendmsg sendmsg(MSG_DEALLOC_VGPRS)
	s_endpgm
	.section	.rodata,"a",@progbits
	.p2align	6, 0x0
	.amdhsa_kernel _Z6kernelI14exclusive_scanfLj31ELj100EEvPKT0_PS1_S1_
		.amdhsa_group_segment_fixed_size 124
		.amdhsa_private_segment_fixed_size 0
		.amdhsa_kernarg_size 280
		.amdhsa_user_sgpr_count 15
		.amdhsa_user_sgpr_dispatch_ptr 0
		.amdhsa_user_sgpr_queue_ptr 0
		.amdhsa_user_sgpr_kernarg_segment_ptr 1
		.amdhsa_user_sgpr_dispatch_id 0
		.amdhsa_user_sgpr_private_segment_size 0
		.amdhsa_wavefront_size32 1
		.amdhsa_uses_dynamic_stack 0
		.amdhsa_enable_private_segment 0
		.amdhsa_system_sgpr_workgroup_id_x 1
		.amdhsa_system_sgpr_workgroup_id_y 0
		.amdhsa_system_sgpr_workgroup_id_z 0
		.amdhsa_system_sgpr_workgroup_info 0
		.amdhsa_system_vgpr_workitem_id 0
		.amdhsa_next_free_vgpr 10
		.amdhsa_next_free_sgpr 16
		.amdhsa_reserve_vcc 1
		.amdhsa_float_round_mode_32 0
		.amdhsa_float_round_mode_16_64 0
		.amdhsa_float_denorm_mode_32 3
		.amdhsa_float_denorm_mode_16_64 3
		.amdhsa_dx10_clamp 1
		.amdhsa_ieee_mode 1
		.amdhsa_fp16_overflow 0
		.amdhsa_workgroup_processor_mode 1
		.amdhsa_memory_ordered 1
		.amdhsa_forward_progress 0
		.amdhsa_shared_vgpr_count 0
		.amdhsa_exception_fp_ieee_invalid_op 0
		.amdhsa_exception_fp_denorm_src 0
		.amdhsa_exception_fp_ieee_div_zero 0
		.amdhsa_exception_fp_ieee_overflow 0
		.amdhsa_exception_fp_ieee_underflow 0
		.amdhsa_exception_fp_ieee_inexact 0
		.amdhsa_exception_int_div_zero 0
	.end_amdhsa_kernel
	.section	.text._Z6kernelI14exclusive_scanfLj31ELj100EEvPKT0_PS1_S1_,"axG",@progbits,_Z6kernelI14exclusive_scanfLj31ELj100EEvPKT0_PS1_S1_,comdat
.Lfunc_end70:
	.size	_Z6kernelI14exclusive_scanfLj31ELj100EEvPKT0_PS1_S1_, .Lfunc_end70-_Z6kernelI14exclusive_scanfLj31ELj100EEvPKT0_PS1_S1_
                                        ; -- End function
	.section	.AMDGPU.csdata,"",@progbits
; Kernel info:
; codeLenInByte = 528
; NumSgprs: 18
; NumVgprs: 10
; ScratchSize: 0
; MemoryBound: 0
; FloatMode: 240
; IeeeMode: 1
; LDSByteSize: 124 bytes/workgroup (compile time only)
; SGPRBlocks: 2
; VGPRBlocks: 1
; NumSGPRsForWavesPerEU: 18
; NumVGPRsForWavesPerEU: 10
; Occupancy: 16
; WaveLimiterHint : 0
; COMPUTE_PGM_RSRC2:SCRATCH_EN: 0
; COMPUTE_PGM_RSRC2:USER_SGPR: 15
; COMPUTE_PGM_RSRC2:TRAP_HANDLER: 0
; COMPUTE_PGM_RSRC2:TGID_X_EN: 1
; COMPUTE_PGM_RSRC2:TGID_Y_EN: 0
; COMPUTE_PGM_RSRC2:TGID_Z_EN: 0
; COMPUTE_PGM_RSRC2:TIDIG_COMP_CNT: 0
	.section	.text._Z6kernelI14exclusive_scanfLj15ELj100EEvPKT0_PS1_S1_,"axG",@progbits,_Z6kernelI14exclusive_scanfLj15ELj100EEvPKT0_PS1_S1_,comdat
	.protected	_Z6kernelI14exclusive_scanfLj15ELj100EEvPKT0_PS1_S1_ ; -- Begin function _Z6kernelI14exclusive_scanfLj15ELj100EEvPKT0_PS1_S1_
	.globl	_Z6kernelI14exclusive_scanfLj15ELj100EEvPKT0_PS1_S1_
	.p2align	8
	.type	_Z6kernelI14exclusive_scanfLj15ELj100EEvPKT0_PS1_S1_,@function
_Z6kernelI14exclusive_scanfLj15ELj100EEvPKT0_PS1_S1_: ; @_Z6kernelI14exclusive_scanfLj15ELj100EEvPKT0_PS1_S1_
; %bb.0:
	s_clause 0x2
	s_load_b32 s2, s[0:1], 0x24
	s_load_b128 s[4:7], s[0:1], 0x0
	s_load_b32 s3, s[0:1], 0x10
	s_waitcnt lgkmcnt(0)
	s_and_b32 s2, s2, 0xffff
	s_delay_alu instid0(SALU_CYCLE_1) | instskip(SKIP_1) | instid1(VALU_DEP_1)
	v_mad_u64_u32 v[1:2], null, s15, s2, v[0:1]
	v_mov_b32_e32 v2, 0
	v_lshlrev_b64 v[0:1], 2, v[1:2]
	s_delay_alu instid0(VALU_DEP_1) | instskip(NEXT) | instid1(VALU_DEP_2)
	v_add_co_u32 v2, vcc_lo, s4, v0
	v_add_co_ci_u32_e32 v3, vcc_lo, s5, v1, vcc_lo
	s_movk_i32 s4, 0x64
	global_load_b32 v2, v[2:3], off
	v_mbcnt_lo_u32_b32 v3, -1, 0
	s_delay_alu instid0(VALU_DEP_1) | instskip(NEXT) | instid1(VALU_DEP_1)
	v_mul_hi_u32 v4, 0x11111112, v3
	v_mul_u32_u24_e32 v4, 15, v4
	s_delay_alu instid0(VALU_DEP_1) | instskip(NEXT) | instid1(VALU_DEP_1)
	v_sub_nc_u32_e32 v4, v3, v4
	v_lshlrev_b32_e32 v3, 2, v4
	v_cmp_ne_u32_e32 vcc_lo, 0, v4
	v_cmp_lt_u32_e64 s0, 1, v4
	v_cmp_lt_u32_e64 s1, 3, v4
	;; [unrolled: 1-line block ×3, first 2 shown]
	v_add_nc_u32_e32 v4, -4, v3
	v_add_nc_u32_e32 v5, -8, v3
	;; [unrolled: 1-line block ×3, first 2 shown]
	v_subrev_nc_u32_e32 v7, 32, v3
	s_branch .LBB71_2
.LBB71_1:                               ;   in Loop: Header=BB71_2 Depth=1
	s_or_b32 exec_lo, exec_lo, s5
	s_add_i32 s4, s4, -1
	s_delay_alu instid0(SALU_CYCLE_1)
	s_cmp_lg_u32 s4, 0
	s_cbranch_scc0 .LBB71_20
.LBB71_2:                               ; =>This Inner Loop Header: Depth=1
	s_waitcnt vmcnt(0)
	ds_store_b32 v3, v2
	; wave barrier
	s_and_saveexec_b32 s5, vcc_lo
	s_cbranch_execz .LBB71_4
; %bb.3:                                ;   in Loop: Header=BB71_2 Depth=1
	ds_load_b32 v8, v4
	s_waitcnt lgkmcnt(0)
	v_add_f32_e32 v2, v2, v8
.LBB71_4:                               ;   in Loop: Header=BB71_2 Depth=1
	s_or_b32 exec_lo, exec_lo, s5
	; wave barrier
	s_and_saveexec_b32 s5, vcc_lo
	s_cbranch_execz .LBB71_6
; %bb.5:                                ;   in Loop: Header=BB71_2 Depth=1
	ds_store_b32 v3, v2
.LBB71_6:                               ;   in Loop: Header=BB71_2 Depth=1
	s_or_b32 exec_lo, exec_lo, s5
	; wave barrier
	s_and_saveexec_b32 s5, s0
	s_cbranch_execz .LBB71_8
; %bb.7:                                ;   in Loop: Header=BB71_2 Depth=1
	ds_load_b32 v8, v5
	s_waitcnt lgkmcnt(0)
	v_add_f32_e32 v2, v2, v8
.LBB71_8:                               ;   in Loop: Header=BB71_2 Depth=1
	s_or_b32 exec_lo, exec_lo, s5
	; wave barrier
	s_and_saveexec_b32 s5, s0
	s_cbranch_execz .LBB71_10
; %bb.9:                                ;   in Loop: Header=BB71_2 Depth=1
	ds_store_b32 v3, v2
.LBB71_10:                              ;   in Loop: Header=BB71_2 Depth=1
	s_or_b32 exec_lo, exec_lo, s5
	; wave barrier
	s_and_saveexec_b32 s5, s1
	s_cbranch_execz .LBB71_12
; %bb.11:                               ;   in Loop: Header=BB71_2 Depth=1
	ds_load_b32 v8, v6
	s_waitcnt lgkmcnt(0)
	v_add_f32_e32 v2, v2, v8
.LBB71_12:                              ;   in Loop: Header=BB71_2 Depth=1
	s_or_b32 exec_lo, exec_lo, s5
	; wave barrier
	s_and_saveexec_b32 s5, s1
	s_cbranch_execz .LBB71_14
; %bb.13:                               ;   in Loop: Header=BB71_2 Depth=1
	ds_store_b32 v3, v2
.LBB71_14:                              ;   in Loop: Header=BB71_2 Depth=1
	s_or_b32 exec_lo, exec_lo, s5
	; wave barrier
	s_and_saveexec_b32 s5, s2
	s_cbranch_execz .LBB71_16
; %bb.15:                               ;   in Loop: Header=BB71_2 Depth=1
	ds_load_b32 v8, v7
	s_waitcnt lgkmcnt(0)
	v_add_f32_e32 v2, v2, v8
.LBB71_16:                              ;   in Loop: Header=BB71_2 Depth=1
	s_or_b32 exec_lo, exec_lo, s5
	; wave barrier
	s_and_saveexec_b32 s5, s2
	s_cbranch_execz .LBB71_18
; %bb.17:                               ;   in Loop: Header=BB71_2 Depth=1
	ds_store_b32 v3, v2
.LBB71_18:                              ;   in Loop: Header=BB71_2 Depth=1
	s_or_b32 exec_lo, exec_lo, s5
	v_mov_b32_e32 v2, s3
	; wave barrier
	s_and_saveexec_b32 s5, vcc_lo
	s_cbranch_execz .LBB71_1
; %bb.19:                               ;   in Loop: Header=BB71_2 Depth=1
	ds_load_b32 v2, v4
	s_waitcnt lgkmcnt(0)
	v_add_f32_e32 v2, s3, v2
	s_branch .LBB71_1
.LBB71_20:
	v_add_co_u32 v0, vcc_lo, s6, v0
	v_add_co_ci_u32_e32 v1, vcc_lo, s7, v1, vcc_lo
	global_store_b32 v[0:1], v2, off
	s_nop 0
	s_sendmsg sendmsg(MSG_DEALLOC_VGPRS)
	s_endpgm
	.section	.rodata,"a",@progbits
	.p2align	6, 0x0
	.amdhsa_kernel _Z6kernelI14exclusive_scanfLj15ELj100EEvPKT0_PS1_S1_
		.amdhsa_group_segment_fixed_size 60
		.amdhsa_private_segment_fixed_size 0
		.amdhsa_kernarg_size 280
		.amdhsa_user_sgpr_count 15
		.amdhsa_user_sgpr_dispatch_ptr 0
		.amdhsa_user_sgpr_queue_ptr 0
		.amdhsa_user_sgpr_kernarg_segment_ptr 1
		.amdhsa_user_sgpr_dispatch_id 0
		.amdhsa_user_sgpr_private_segment_size 0
		.amdhsa_wavefront_size32 1
		.amdhsa_uses_dynamic_stack 0
		.amdhsa_enable_private_segment 0
		.amdhsa_system_sgpr_workgroup_id_x 1
		.amdhsa_system_sgpr_workgroup_id_y 0
		.amdhsa_system_sgpr_workgroup_id_z 0
		.amdhsa_system_sgpr_workgroup_info 0
		.amdhsa_system_vgpr_workitem_id 0
		.amdhsa_next_free_vgpr 9
		.amdhsa_next_free_sgpr 16
		.amdhsa_reserve_vcc 1
		.amdhsa_float_round_mode_32 0
		.amdhsa_float_round_mode_16_64 0
		.amdhsa_float_denorm_mode_32 3
		.amdhsa_float_denorm_mode_16_64 3
		.amdhsa_dx10_clamp 1
		.amdhsa_ieee_mode 1
		.amdhsa_fp16_overflow 0
		.amdhsa_workgroup_processor_mode 1
		.amdhsa_memory_ordered 1
		.amdhsa_forward_progress 0
		.amdhsa_shared_vgpr_count 0
		.amdhsa_exception_fp_ieee_invalid_op 0
		.amdhsa_exception_fp_denorm_src 0
		.amdhsa_exception_fp_ieee_div_zero 0
		.amdhsa_exception_fp_ieee_overflow 0
		.amdhsa_exception_fp_ieee_underflow 0
		.amdhsa_exception_fp_ieee_inexact 0
		.amdhsa_exception_int_div_zero 0
	.end_amdhsa_kernel
	.section	.text._Z6kernelI14exclusive_scanfLj15ELj100EEvPKT0_PS1_S1_,"axG",@progbits,_Z6kernelI14exclusive_scanfLj15ELj100EEvPKT0_PS1_S1_,comdat
.Lfunc_end71:
	.size	_Z6kernelI14exclusive_scanfLj15ELj100EEvPKT0_PS1_S1_, .Lfunc_end71-_Z6kernelI14exclusive_scanfLj15ELj100EEvPKT0_PS1_S1_
                                        ; -- End function
	.section	.AMDGPU.csdata,"",@progbits
; Kernel info:
; codeLenInByte = 468
; NumSgprs: 18
; NumVgprs: 9
; ScratchSize: 0
; MemoryBound: 0
; FloatMode: 240
; IeeeMode: 1
; LDSByteSize: 60 bytes/workgroup (compile time only)
; SGPRBlocks: 2
; VGPRBlocks: 1
; NumSGPRsForWavesPerEU: 18
; NumVGPRsForWavesPerEU: 9
; Occupancy: 16
; WaveLimiterHint : 0
; COMPUTE_PGM_RSRC2:SCRATCH_EN: 0
; COMPUTE_PGM_RSRC2:USER_SGPR: 15
; COMPUTE_PGM_RSRC2:TRAP_HANDLER: 0
; COMPUTE_PGM_RSRC2:TGID_X_EN: 1
; COMPUTE_PGM_RSRC2:TGID_Y_EN: 0
; COMPUTE_PGM_RSRC2:TGID_Z_EN: 0
; COMPUTE_PGM_RSRC2:TIDIG_COMP_CNT: 0
	.section	.text._Z6kernelI14exclusive_scandLj64ELj100EEvPKT0_PS1_S1_,"axG",@progbits,_Z6kernelI14exclusive_scandLj64ELj100EEvPKT0_PS1_S1_,comdat
	.protected	_Z6kernelI14exclusive_scandLj64ELj100EEvPKT0_PS1_S1_ ; -- Begin function _Z6kernelI14exclusive_scandLj64ELj100EEvPKT0_PS1_S1_
	.globl	_Z6kernelI14exclusive_scandLj64ELj100EEvPKT0_PS1_S1_
	.p2align	8
	.type	_Z6kernelI14exclusive_scandLj64ELj100EEvPKT0_PS1_S1_,@function
_Z6kernelI14exclusive_scandLj64ELj100EEvPKT0_PS1_S1_: ; @_Z6kernelI14exclusive_scandLj64ELj100EEvPKT0_PS1_S1_
; %bb.0:
	s_clause 0x1
	s_load_b32 s4, s[0:1], 0x24
	s_load_b128 s[0:3], s[0:1], 0x0
	s_waitcnt lgkmcnt(0)
	s_and_b32 s4, s4, 0xffff
	s_delay_alu instid0(SALU_CYCLE_1) | instskip(SKIP_1) | instid1(VALU_DEP_1)
	v_mad_u64_u32 v[1:2], null, s15, s4, v[0:1]
	v_mov_b32_e32 v2, 0
	v_lshlrev_b64 v[0:1], 3, v[1:2]
	s_delay_alu instid0(VALU_DEP_1) | instskip(NEXT) | instid1(VALU_DEP_2)
	v_add_co_u32 v2, vcc_lo, s0, v0
	v_add_co_ci_u32_e32 v3, vcc_lo, s1, v1, vcc_lo
	v_add_co_u32 v0, vcc_lo, s2, v0
	v_add_co_ci_u32_e32 v1, vcc_lo, s3, v1, vcc_lo
	global_load_b64 v[2:3], v[2:3], off
	s_waitcnt vmcnt(0)
	global_store_b64 v[0:1], v[2:3], off
	s_nop 0
	s_sendmsg sendmsg(MSG_DEALLOC_VGPRS)
	s_endpgm
	.section	.rodata,"a",@progbits
	.p2align	6, 0x0
	.amdhsa_kernel _Z6kernelI14exclusive_scandLj64ELj100EEvPKT0_PS1_S1_
		.amdhsa_group_segment_fixed_size 0
		.amdhsa_private_segment_fixed_size 0
		.amdhsa_kernarg_size 280
		.amdhsa_user_sgpr_count 15
		.amdhsa_user_sgpr_dispatch_ptr 0
		.amdhsa_user_sgpr_queue_ptr 0
		.amdhsa_user_sgpr_kernarg_segment_ptr 1
		.amdhsa_user_sgpr_dispatch_id 0
		.amdhsa_user_sgpr_private_segment_size 0
		.amdhsa_wavefront_size32 1
		.amdhsa_uses_dynamic_stack 0
		.amdhsa_enable_private_segment 0
		.amdhsa_system_sgpr_workgroup_id_x 1
		.amdhsa_system_sgpr_workgroup_id_y 0
		.amdhsa_system_sgpr_workgroup_id_z 0
		.amdhsa_system_sgpr_workgroup_info 0
		.amdhsa_system_vgpr_workitem_id 0
		.amdhsa_next_free_vgpr 4
		.amdhsa_next_free_sgpr 16
		.amdhsa_reserve_vcc 1
		.amdhsa_float_round_mode_32 0
		.amdhsa_float_round_mode_16_64 0
		.amdhsa_float_denorm_mode_32 3
		.amdhsa_float_denorm_mode_16_64 3
		.amdhsa_dx10_clamp 1
		.amdhsa_ieee_mode 1
		.amdhsa_fp16_overflow 0
		.amdhsa_workgroup_processor_mode 1
		.amdhsa_memory_ordered 1
		.amdhsa_forward_progress 0
		.amdhsa_shared_vgpr_count 0
		.amdhsa_exception_fp_ieee_invalid_op 0
		.amdhsa_exception_fp_denorm_src 0
		.amdhsa_exception_fp_ieee_div_zero 0
		.amdhsa_exception_fp_ieee_overflow 0
		.amdhsa_exception_fp_ieee_underflow 0
		.amdhsa_exception_fp_ieee_inexact 0
		.amdhsa_exception_int_div_zero 0
	.end_amdhsa_kernel
	.section	.text._Z6kernelI14exclusive_scandLj64ELj100EEvPKT0_PS1_S1_,"axG",@progbits,_Z6kernelI14exclusive_scandLj64ELj100EEvPKT0_PS1_S1_,comdat
.Lfunc_end72:
	.size	_Z6kernelI14exclusive_scandLj64ELj100EEvPKT0_PS1_S1_, .Lfunc_end72-_Z6kernelI14exclusive_scandLj64ELj100EEvPKT0_PS1_S1_
                                        ; -- End function
	.section	.AMDGPU.csdata,"",@progbits
; Kernel info:
; codeLenInByte = 116
; NumSgprs: 18
; NumVgprs: 4
; ScratchSize: 0
; MemoryBound: 0
; FloatMode: 240
; IeeeMode: 1
; LDSByteSize: 0 bytes/workgroup (compile time only)
; SGPRBlocks: 2
; VGPRBlocks: 0
; NumSGPRsForWavesPerEU: 18
; NumVGPRsForWavesPerEU: 4
; Occupancy: 16
; WaveLimiterHint : 0
; COMPUTE_PGM_RSRC2:SCRATCH_EN: 0
; COMPUTE_PGM_RSRC2:USER_SGPR: 15
; COMPUTE_PGM_RSRC2:TRAP_HANDLER: 0
; COMPUTE_PGM_RSRC2:TGID_X_EN: 1
; COMPUTE_PGM_RSRC2:TGID_Y_EN: 0
; COMPUTE_PGM_RSRC2:TGID_Z_EN: 0
; COMPUTE_PGM_RSRC2:TIDIG_COMP_CNT: 0
	.section	.text._Z6kernelI14exclusive_scandLj32ELj100EEvPKT0_PS1_S1_,"axG",@progbits,_Z6kernelI14exclusive_scandLj32ELj100EEvPKT0_PS1_S1_,comdat
	.protected	_Z6kernelI14exclusive_scandLj32ELj100EEvPKT0_PS1_S1_ ; -- Begin function _Z6kernelI14exclusive_scandLj32ELj100EEvPKT0_PS1_S1_
	.globl	_Z6kernelI14exclusive_scandLj32ELj100EEvPKT0_PS1_S1_
	.p2align	8
	.type	_Z6kernelI14exclusive_scandLj32ELj100EEvPKT0_PS1_S1_,@function
_Z6kernelI14exclusive_scandLj32ELj100EEvPKT0_PS1_S1_: ; @_Z6kernelI14exclusive_scandLj32ELj100EEvPKT0_PS1_S1_
; %bb.0:
	s_clause 0x1
	s_load_b32 s2, s[0:1], 0x24
	s_load_b128 s[4:7], s[0:1], 0x0
	v_mbcnt_lo_u32_b32 v4, -1, 0
	s_load_b64 s[8:9], s[0:1], 0x10
	s_delay_alu instid0(VALU_DEP_1) | instskip(SKIP_2) | instid1(VALU_DEP_3)
	v_add_nc_u32_e32 v6, -1, v4
	v_and_b32_e32 v7, 16, v4
	v_and_b32_e32 v5, 15, v4
	v_cmp_gt_i32_e64 s0, 0, v6
	s_delay_alu instid0(VALU_DEP_3) | instskip(NEXT) | instid1(VALU_DEP_3)
	v_cmp_ne_u32_e64 s3, 0, v7
	v_cmp_lt_u32_e64 s1, 3, v5
	s_delay_alu instid0(VALU_DEP_3) | instskip(SKIP_3) | instid1(SALU_CYCLE_1)
	v_cndmask_b32_e64 v6, v6, v4, s0
	v_cmp_lt_u32_e64 s0, 1, v5
	s_waitcnt lgkmcnt(0)
	s_and_b32 s2, s2, 0xffff
	v_mad_u64_u32 v[1:2], null, s15, s2, v[0:1]
	v_mov_b32_e32 v2, 0
	v_cmp_lt_u32_e64 s2, 7, v5
	v_lshlrev_b32_e32 v6, 2, v6
	s_delay_alu instid0(VALU_DEP_3) | instskip(NEXT) | instid1(VALU_DEP_1)
	v_lshlrev_b64 v[0:1], 3, v[1:2]
	v_add_co_u32 v2, vcc_lo, s4, v0
	s_delay_alu instid0(VALU_DEP_2)
	v_add_co_ci_u32_e32 v3, vcc_lo, s5, v1, vcc_lo
	v_cmp_ne_u32_e32 vcc_lo, 0, v5
	v_cmp_eq_u32_e64 s4, 0, v4
	s_movk_i32 s5, 0x64
	global_load_b64 v[2:3], v[2:3], off
	s_branch .LBB73_2
.LBB73_1:                               ;   in Loop: Header=BB73_2 Depth=1
	s_or_b32 exec_lo, exec_lo, s10
	s_delay_alu instid0(VALU_DEP_1) | instskip(SKIP_1) | instid1(SALU_CYCLE_1)
	v_add_f64 v[2:3], v[2:3], s[8:9]
	s_add_i32 s5, s5, -1
	s_cmp_lg_u32 s5, 0
	ds_bpermute_b32 v3, v6, v3
	ds_bpermute_b32 v2, v6, v2
	s_waitcnt lgkmcnt(1)
	v_cndmask_b32_e64 v3, v3, s9, s4
	s_waitcnt lgkmcnt(0)
	v_cndmask_b32_e64 v2, v2, s8, s4
	s_cbranch_scc0 .LBB73_12
.LBB73_2:                               ; =>This Inner Loop Header: Depth=1
	s_waitcnt vmcnt(0)
	s_delay_alu instid0(VALU_DEP_1)
	v_mov_b32_dpp v4, v2 row_shr:1 row_mask:0xf bank_mask:0xf
	v_mov_b32_dpp v5, v3 row_shr:1 row_mask:0xf bank_mask:0xf
	s_and_saveexec_b32 s10, vcc_lo
; %bb.3:                                ;   in Loop: Header=BB73_2 Depth=1
	s_delay_alu instid0(VALU_DEP_1)
	v_add_f64 v[2:3], v[2:3], v[4:5]
; %bb.4:                                ;   in Loop: Header=BB73_2 Depth=1
	s_or_b32 exec_lo, exec_lo, s10
	s_delay_alu instid0(VALU_DEP_1) | instskip(NEXT) | instid1(VALU_DEP_2)
	v_mov_b32_dpp v4, v2 row_shr:2 row_mask:0xf bank_mask:0xf
	v_mov_b32_dpp v5, v3 row_shr:2 row_mask:0xf bank_mask:0xf
	s_and_saveexec_b32 s10, s0
; %bb.5:                                ;   in Loop: Header=BB73_2 Depth=1
	s_delay_alu instid0(VALU_DEP_1)
	v_add_f64 v[2:3], v[2:3], v[4:5]
; %bb.6:                                ;   in Loop: Header=BB73_2 Depth=1
	s_or_b32 exec_lo, exec_lo, s10
	s_delay_alu instid0(VALU_DEP_1) | instskip(NEXT) | instid1(VALU_DEP_2)
	v_mov_b32_dpp v4, v2 row_shr:4 row_mask:0xf bank_mask:0xf
	v_mov_b32_dpp v5, v3 row_shr:4 row_mask:0xf bank_mask:0xf
	s_and_saveexec_b32 s10, s1
	;; [unrolled: 9-line block ×3, first 2 shown]
; %bb.9:                                ;   in Loop: Header=BB73_2 Depth=1
	s_delay_alu instid0(VALU_DEP_1)
	v_add_f64 v[2:3], v[2:3], v[4:5]
; %bb.10:                               ;   in Loop: Header=BB73_2 Depth=1
	s_or_b32 exec_lo, exec_lo, s10
	ds_swizzle_b32 v4, v2 offset:swizzle(BROADCAST,32,15)
	ds_swizzle_b32 v5, v3 offset:swizzle(BROADCAST,32,15)
	s_and_saveexec_b32 s10, s3
	s_cbranch_execz .LBB73_1
; %bb.11:                               ;   in Loop: Header=BB73_2 Depth=1
	s_waitcnt lgkmcnt(0)
	v_add_f64 v[2:3], v[2:3], v[4:5]
	s_branch .LBB73_1
.LBB73_12:
	v_add_co_u32 v0, vcc_lo, s6, v0
	v_add_co_ci_u32_e32 v1, vcc_lo, s7, v1, vcc_lo
	global_store_b64 v[0:1], v[2:3], off
	s_nop 0
	s_sendmsg sendmsg(MSG_DEALLOC_VGPRS)
	s_endpgm
	.section	.rodata,"a",@progbits
	.p2align	6, 0x0
	.amdhsa_kernel _Z6kernelI14exclusive_scandLj32ELj100EEvPKT0_PS1_S1_
		.amdhsa_group_segment_fixed_size 0
		.amdhsa_private_segment_fixed_size 0
		.amdhsa_kernarg_size 280
		.amdhsa_user_sgpr_count 15
		.amdhsa_user_sgpr_dispatch_ptr 0
		.amdhsa_user_sgpr_queue_ptr 0
		.amdhsa_user_sgpr_kernarg_segment_ptr 1
		.amdhsa_user_sgpr_dispatch_id 0
		.amdhsa_user_sgpr_private_segment_size 0
		.amdhsa_wavefront_size32 1
		.amdhsa_uses_dynamic_stack 0
		.amdhsa_enable_private_segment 0
		.amdhsa_system_sgpr_workgroup_id_x 1
		.amdhsa_system_sgpr_workgroup_id_y 0
		.amdhsa_system_sgpr_workgroup_id_z 0
		.amdhsa_system_sgpr_workgroup_info 0
		.amdhsa_system_vgpr_workitem_id 0
		.amdhsa_next_free_vgpr 8
		.amdhsa_next_free_sgpr 16
		.amdhsa_reserve_vcc 1
		.amdhsa_float_round_mode_32 0
		.amdhsa_float_round_mode_16_64 0
		.amdhsa_float_denorm_mode_32 3
		.amdhsa_float_denorm_mode_16_64 3
		.amdhsa_dx10_clamp 1
		.amdhsa_ieee_mode 1
		.amdhsa_fp16_overflow 0
		.amdhsa_workgroup_processor_mode 1
		.amdhsa_memory_ordered 1
		.amdhsa_forward_progress 0
		.amdhsa_shared_vgpr_count 0
		.amdhsa_exception_fp_ieee_invalid_op 0
		.amdhsa_exception_fp_denorm_src 0
		.amdhsa_exception_fp_ieee_div_zero 0
		.amdhsa_exception_fp_ieee_overflow 0
		.amdhsa_exception_fp_ieee_underflow 0
		.amdhsa_exception_fp_ieee_inexact 0
		.amdhsa_exception_int_div_zero 0
	.end_amdhsa_kernel
	.section	.text._Z6kernelI14exclusive_scandLj32ELj100EEvPKT0_PS1_S1_,"axG",@progbits,_Z6kernelI14exclusive_scandLj32ELj100EEvPKT0_PS1_S1_,comdat
.Lfunc_end73:
	.size	_Z6kernelI14exclusive_scandLj32ELj100EEvPKT0_PS1_S1_, .Lfunc_end73-_Z6kernelI14exclusive_scandLj32ELj100EEvPKT0_PS1_S1_
                                        ; -- End function
	.section	.AMDGPU.csdata,"",@progbits
; Kernel info:
; codeLenInByte = 496
; NumSgprs: 18
; NumVgprs: 8
; ScratchSize: 0
; MemoryBound: 0
; FloatMode: 240
; IeeeMode: 1
; LDSByteSize: 0 bytes/workgroup (compile time only)
; SGPRBlocks: 2
; VGPRBlocks: 0
; NumSGPRsForWavesPerEU: 18
; NumVGPRsForWavesPerEU: 8
; Occupancy: 16
; WaveLimiterHint : 0
; COMPUTE_PGM_RSRC2:SCRATCH_EN: 0
; COMPUTE_PGM_RSRC2:USER_SGPR: 15
; COMPUTE_PGM_RSRC2:TRAP_HANDLER: 0
; COMPUTE_PGM_RSRC2:TGID_X_EN: 1
; COMPUTE_PGM_RSRC2:TGID_Y_EN: 0
; COMPUTE_PGM_RSRC2:TGID_Z_EN: 0
; COMPUTE_PGM_RSRC2:TIDIG_COMP_CNT: 0
	.section	.text._Z6kernelI14exclusive_scandLj16ELj100EEvPKT0_PS1_S1_,"axG",@progbits,_Z6kernelI14exclusive_scandLj16ELj100EEvPKT0_PS1_S1_,comdat
	.protected	_Z6kernelI14exclusive_scandLj16ELj100EEvPKT0_PS1_S1_ ; -- Begin function _Z6kernelI14exclusive_scandLj16ELj100EEvPKT0_PS1_S1_
	.globl	_Z6kernelI14exclusive_scandLj16ELj100EEvPKT0_PS1_S1_
	.p2align	8
	.type	_Z6kernelI14exclusive_scandLj16ELj100EEvPKT0_PS1_S1_,@function
_Z6kernelI14exclusive_scandLj16ELj100EEvPKT0_PS1_S1_: ; @_Z6kernelI14exclusive_scandLj16ELj100EEvPKT0_PS1_S1_
; %bb.0:
	s_clause 0x1
	s_load_b32 s2, s[0:1], 0x24
	s_load_b128 s[4:7], s[0:1], 0x0
	v_mbcnt_lo_u32_b32 v4, -1, 0
	s_load_b64 s[8:9], s[0:1], 0x10
	s_delay_alu instid0(VALU_DEP_1) | instskip(SKIP_2) | instid1(VALU_DEP_2)
	v_add_nc_u32_e32 v6, -1, v4
	v_and_b32_e32 v7, 16, v4
	v_and_b32_e32 v5, 15, v4
	v_cmp_lt_i32_e64 s0, v6, v7
	s_delay_alu instid0(VALU_DEP_2) | instskip(SKIP_1) | instid1(VALU_DEP_3)
	v_cmp_lt_u32_e64 s1, 1, v5
	v_cmp_lt_u32_e64 s3, 7, v5
	v_cndmask_b32_e64 v4, v6, v4, s0
	v_cmp_ne_u32_e64 s0, 0, v5
	s_waitcnt lgkmcnt(0)
	s_and_b32 s2, s2, 0xffff
	s_delay_alu instid0(SALU_CYCLE_1) | instskip(SKIP_3) | instid1(VALU_DEP_3)
	v_mad_u64_u32 v[1:2], null, s15, s2, v[0:1]
	v_mov_b32_e32 v2, 0
	v_cmp_lt_u32_e64 s2, 3, v5
	v_lshlrev_b32_e32 v6, 2, v4
	v_lshlrev_b64 v[0:1], 3, v[1:2]
	s_delay_alu instid0(VALU_DEP_1) | instskip(NEXT) | instid1(VALU_DEP_2)
	v_add_co_u32 v2, vcc_lo, s4, v0
	v_add_co_ci_u32_e32 v3, vcc_lo, s5, v1, vcc_lo
	v_cmp_eq_u32_e32 vcc_lo, 0, v5
	s_movk_i32 s4, 0x64
	global_load_b64 v[2:3], v[2:3], off
	s_branch .LBB74_2
.LBB74_1:                               ;   in Loop: Header=BB74_2 Depth=1
	s_or_b32 exec_lo, exec_lo, s5
	s_delay_alu instid0(VALU_DEP_1) | instskip(SKIP_1) | instid1(SALU_CYCLE_1)
	v_add_f64 v[2:3], v[2:3], s[8:9]
	s_add_i32 s4, s4, -1
	s_cmp_lg_u32 s4, 0
	ds_bpermute_b32 v3, v6, v3
	ds_bpermute_b32 v2, v6, v2
	s_waitcnt lgkmcnt(1)
	v_cndmask_b32_e64 v3, v3, s9, vcc_lo
	s_waitcnt lgkmcnt(0)
	v_cndmask_b32_e64 v2, v2, s8, vcc_lo
	s_cbranch_scc0 .LBB74_10
.LBB74_2:                               ; =>This Inner Loop Header: Depth=1
	s_waitcnt vmcnt(0)
	s_delay_alu instid0(VALU_DEP_1)
	v_mov_b32_dpp v4, v2 row_shr:1 row_mask:0xf bank_mask:0xf
	v_mov_b32_dpp v5, v3 row_shr:1 row_mask:0xf bank_mask:0xf
	s_and_saveexec_b32 s5, s0
; %bb.3:                                ;   in Loop: Header=BB74_2 Depth=1
	s_delay_alu instid0(VALU_DEP_1)
	v_add_f64 v[2:3], v[2:3], v[4:5]
; %bb.4:                                ;   in Loop: Header=BB74_2 Depth=1
	s_or_b32 exec_lo, exec_lo, s5
	s_delay_alu instid0(VALU_DEP_1) | instskip(NEXT) | instid1(VALU_DEP_2)
	v_mov_b32_dpp v4, v2 row_shr:2 row_mask:0xf bank_mask:0xf
	v_mov_b32_dpp v5, v3 row_shr:2 row_mask:0xf bank_mask:0xf
	s_and_saveexec_b32 s5, s1
; %bb.5:                                ;   in Loop: Header=BB74_2 Depth=1
	s_delay_alu instid0(VALU_DEP_1)
	v_add_f64 v[2:3], v[2:3], v[4:5]
; %bb.6:                                ;   in Loop: Header=BB74_2 Depth=1
	s_or_b32 exec_lo, exec_lo, s5
	s_delay_alu instid0(VALU_DEP_1) | instskip(NEXT) | instid1(VALU_DEP_2)
	;; [unrolled: 9-line block ×3, first 2 shown]
	v_mov_b32_dpp v4, v2 row_shr:8 row_mask:0xf bank_mask:0xf
	v_mov_b32_dpp v5, v3 row_shr:8 row_mask:0xf bank_mask:0xf
	s_and_saveexec_b32 s5, s3
	s_cbranch_execz .LBB74_1
; %bb.9:                                ;   in Loop: Header=BB74_2 Depth=1
	s_delay_alu instid0(VALU_DEP_1)
	v_add_f64 v[2:3], v[2:3], v[4:5]
	s_branch .LBB74_1
.LBB74_10:
	v_add_co_u32 v0, vcc_lo, s6, v0
	v_add_co_ci_u32_e32 v1, vcc_lo, s7, v1, vcc_lo
	global_store_b64 v[0:1], v[2:3], off
	s_nop 0
	s_sendmsg sendmsg(MSG_DEALLOC_VGPRS)
	s_endpgm
	.section	.rodata,"a",@progbits
	.p2align	6, 0x0
	.amdhsa_kernel _Z6kernelI14exclusive_scandLj16ELj100EEvPKT0_PS1_S1_
		.amdhsa_group_segment_fixed_size 0
		.amdhsa_private_segment_fixed_size 0
		.amdhsa_kernarg_size 280
		.amdhsa_user_sgpr_count 15
		.amdhsa_user_sgpr_dispatch_ptr 0
		.amdhsa_user_sgpr_queue_ptr 0
		.amdhsa_user_sgpr_kernarg_segment_ptr 1
		.amdhsa_user_sgpr_dispatch_id 0
		.amdhsa_user_sgpr_private_segment_size 0
		.amdhsa_wavefront_size32 1
		.amdhsa_uses_dynamic_stack 0
		.amdhsa_enable_private_segment 0
		.amdhsa_system_sgpr_workgroup_id_x 1
		.amdhsa_system_sgpr_workgroup_id_y 0
		.amdhsa_system_sgpr_workgroup_id_z 0
		.amdhsa_system_sgpr_workgroup_info 0
		.amdhsa_system_vgpr_workitem_id 0
		.amdhsa_next_free_vgpr 8
		.amdhsa_next_free_sgpr 16
		.amdhsa_reserve_vcc 1
		.amdhsa_float_round_mode_32 0
		.amdhsa_float_round_mode_16_64 0
		.amdhsa_float_denorm_mode_32 3
		.amdhsa_float_denorm_mode_16_64 3
		.amdhsa_dx10_clamp 1
		.amdhsa_ieee_mode 1
		.amdhsa_fp16_overflow 0
		.amdhsa_workgroup_processor_mode 1
		.amdhsa_memory_ordered 1
		.amdhsa_forward_progress 0
		.amdhsa_shared_vgpr_count 0
		.amdhsa_exception_fp_ieee_invalid_op 0
		.amdhsa_exception_fp_denorm_src 0
		.amdhsa_exception_fp_ieee_div_zero 0
		.amdhsa_exception_fp_ieee_overflow 0
		.amdhsa_exception_fp_ieee_underflow 0
		.amdhsa_exception_fp_ieee_inexact 0
		.amdhsa_exception_int_div_zero 0
	.end_amdhsa_kernel
	.section	.text._Z6kernelI14exclusive_scandLj16ELj100EEvPKT0_PS1_S1_,"axG",@progbits,_Z6kernelI14exclusive_scandLj16ELj100EEvPKT0_PS1_S1_,comdat
.Lfunc_end74:
	.size	_Z6kernelI14exclusive_scandLj16ELj100EEvPKT0_PS1_S1_, .Lfunc_end74-_Z6kernelI14exclusive_scandLj16ELj100EEvPKT0_PS1_S1_
                                        ; -- End function
	.section	.AMDGPU.csdata,"",@progbits
; Kernel info:
; codeLenInByte = 448
; NumSgprs: 18
; NumVgprs: 8
; ScratchSize: 0
; MemoryBound: 0
; FloatMode: 240
; IeeeMode: 1
; LDSByteSize: 0 bytes/workgroup (compile time only)
; SGPRBlocks: 2
; VGPRBlocks: 0
; NumSGPRsForWavesPerEU: 18
; NumVGPRsForWavesPerEU: 8
; Occupancy: 16
; WaveLimiterHint : 0
; COMPUTE_PGM_RSRC2:SCRATCH_EN: 0
; COMPUTE_PGM_RSRC2:USER_SGPR: 15
; COMPUTE_PGM_RSRC2:TRAP_HANDLER: 0
; COMPUTE_PGM_RSRC2:TGID_X_EN: 1
; COMPUTE_PGM_RSRC2:TGID_Y_EN: 0
; COMPUTE_PGM_RSRC2:TGID_Z_EN: 0
; COMPUTE_PGM_RSRC2:TIDIG_COMP_CNT: 0
	.section	.text._Z6kernelI14exclusive_scandLj63ELj100EEvPKT0_PS1_S1_,"axG",@progbits,_Z6kernelI14exclusive_scandLj63ELj100EEvPKT0_PS1_S1_,comdat
	.protected	_Z6kernelI14exclusive_scandLj63ELj100EEvPKT0_PS1_S1_ ; -- Begin function _Z6kernelI14exclusive_scandLj63ELj100EEvPKT0_PS1_S1_
	.globl	_Z6kernelI14exclusive_scandLj63ELj100EEvPKT0_PS1_S1_
	.p2align	8
	.type	_Z6kernelI14exclusive_scandLj63ELj100EEvPKT0_PS1_S1_,@function
_Z6kernelI14exclusive_scandLj63ELj100EEvPKT0_PS1_S1_: ; @_Z6kernelI14exclusive_scandLj63ELj100EEvPKT0_PS1_S1_
; %bb.0:
	s_clause 0x1
	s_load_b32 s4, s[0:1], 0x24
	s_load_b128 s[0:3], s[0:1], 0x0
	s_waitcnt lgkmcnt(0)
	s_and_b32 s4, s4, 0xffff
	s_delay_alu instid0(SALU_CYCLE_1) | instskip(SKIP_1) | instid1(VALU_DEP_1)
	v_mad_u64_u32 v[1:2], null, s15, s4, v[0:1]
	v_mov_b32_e32 v2, 0
	v_lshlrev_b64 v[0:1], 3, v[1:2]
	s_delay_alu instid0(VALU_DEP_1) | instskip(NEXT) | instid1(VALU_DEP_2)
	v_add_co_u32 v2, vcc_lo, s0, v0
	v_add_co_ci_u32_e32 v3, vcc_lo, s1, v1, vcc_lo
	v_add_co_u32 v0, vcc_lo, s2, v0
	v_add_co_ci_u32_e32 v1, vcc_lo, s3, v1, vcc_lo
	global_load_b64 v[2:3], v[2:3], off
	s_waitcnt vmcnt(0)
	global_store_b64 v[0:1], v[2:3], off
	s_nop 0
	s_sendmsg sendmsg(MSG_DEALLOC_VGPRS)
	s_endpgm
	.section	.rodata,"a",@progbits
	.p2align	6, 0x0
	.amdhsa_kernel _Z6kernelI14exclusive_scandLj63ELj100EEvPKT0_PS1_S1_
		.amdhsa_group_segment_fixed_size 0
		.amdhsa_private_segment_fixed_size 0
		.amdhsa_kernarg_size 280
		.amdhsa_user_sgpr_count 15
		.amdhsa_user_sgpr_dispatch_ptr 0
		.amdhsa_user_sgpr_queue_ptr 0
		.amdhsa_user_sgpr_kernarg_segment_ptr 1
		.amdhsa_user_sgpr_dispatch_id 0
		.amdhsa_user_sgpr_private_segment_size 0
		.amdhsa_wavefront_size32 1
		.amdhsa_uses_dynamic_stack 0
		.amdhsa_enable_private_segment 0
		.amdhsa_system_sgpr_workgroup_id_x 1
		.amdhsa_system_sgpr_workgroup_id_y 0
		.amdhsa_system_sgpr_workgroup_id_z 0
		.amdhsa_system_sgpr_workgroup_info 0
		.amdhsa_system_vgpr_workitem_id 0
		.amdhsa_next_free_vgpr 4
		.amdhsa_next_free_sgpr 16
		.amdhsa_reserve_vcc 1
		.amdhsa_float_round_mode_32 0
		.amdhsa_float_round_mode_16_64 0
		.amdhsa_float_denorm_mode_32 3
		.amdhsa_float_denorm_mode_16_64 3
		.amdhsa_dx10_clamp 1
		.amdhsa_ieee_mode 1
		.amdhsa_fp16_overflow 0
		.amdhsa_workgroup_processor_mode 1
		.amdhsa_memory_ordered 1
		.amdhsa_forward_progress 0
		.amdhsa_shared_vgpr_count 0
		.amdhsa_exception_fp_ieee_invalid_op 0
		.amdhsa_exception_fp_denorm_src 0
		.amdhsa_exception_fp_ieee_div_zero 0
		.amdhsa_exception_fp_ieee_overflow 0
		.amdhsa_exception_fp_ieee_underflow 0
		.amdhsa_exception_fp_ieee_inexact 0
		.amdhsa_exception_int_div_zero 0
	.end_amdhsa_kernel
	.section	.text._Z6kernelI14exclusive_scandLj63ELj100EEvPKT0_PS1_S1_,"axG",@progbits,_Z6kernelI14exclusive_scandLj63ELj100EEvPKT0_PS1_S1_,comdat
.Lfunc_end75:
	.size	_Z6kernelI14exclusive_scandLj63ELj100EEvPKT0_PS1_S1_, .Lfunc_end75-_Z6kernelI14exclusive_scandLj63ELj100EEvPKT0_PS1_S1_
                                        ; -- End function
	.section	.AMDGPU.csdata,"",@progbits
; Kernel info:
; codeLenInByte = 116
; NumSgprs: 18
; NumVgprs: 4
; ScratchSize: 0
; MemoryBound: 0
; FloatMode: 240
; IeeeMode: 1
; LDSByteSize: 0 bytes/workgroup (compile time only)
; SGPRBlocks: 2
; VGPRBlocks: 0
; NumSGPRsForWavesPerEU: 18
; NumVGPRsForWavesPerEU: 4
; Occupancy: 16
; WaveLimiterHint : 0
; COMPUTE_PGM_RSRC2:SCRATCH_EN: 0
; COMPUTE_PGM_RSRC2:USER_SGPR: 15
; COMPUTE_PGM_RSRC2:TRAP_HANDLER: 0
; COMPUTE_PGM_RSRC2:TGID_X_EN: 1
; COMPUTE_PGM_RSRC2:TGID_Y_EN: 0
; COMPUTE_PGM_RSRC2:TGID_Z_EN: 0
; COMPUTE_PGM_RSRC2:TIDIG_COMP_CNT: 0
	.section	.text._Z6kernelI14exclusive_scandLj31ELj100EEvPKT0_PS1_S1_,"axG",@progbits,_Z6kernelI14exclusive_scandLj31ELj100EEvPKT0_PS1_S1_,comdat
	.protected	_Z6kernelI14exclusive_scandLj31ELj100EEvPKT0_PS1_S1_ ; -- Begin function _Z6kernelI14exclusive_scandLj31ELj100EEvPKT0_PS1_S1_
	.globl	_Z6kernelI14exclusive_scandLj31ELj100EEvPKT0_PS1_S1_
	.p2align	8
	.type	_Z6kernelI14exclusive_scandLj31ELj100EEvPKT0_PS1_S1_,@function
_Z6kernelI14exclusive_scandLj31ELj100EEvPKT0_PS1_S1_: ; @_Z6kernelI14exclusive_scandLj31ELj100EEvPKT0_PS1_S1_
; %bb.0:
	s_clause 0x1
	s_load_b32 s2, s[0:1], 0x24
	s_load_b128 s[4:7], s[0:1], 0x0
	v_mbcnt_lo_u32_b32 v4, -1, 0
	s_load_b64 s[8:9], s[0:1], 0x10
	s_delay_alu instid0(VALU_DEP_1) | instskip(NEXT) | instid1(VALU_DEP_1)
	v_mul_hi_u32 v5, 0x8421085, v4
	v_mul_u32_u24_e32 v5, 31, v5
	s_delay_alu instid0(VALU_DEP_1) | instskip(SKIP_2) | instid1(SALU_CYCLE_1)
	v_sub_nc_u32_e32 v5, v4, v5
	s_waitcnt lgkmcnt(0)
	s_and_b32 s2, s2, 0xffff
	v_mad_u64_u32 v[1:2], null, s15, s2, v[0:1]
	s_delay_alu instid0(VALU_DEP_2)
	v_lshlrev_b32_e32 v4, 3, v5
	v_mov_b32_e32 v2, 0
	v_cmp_lt_u32_e64 s0, 1, v5
	v_cmp_lt_u32_e64 s1, 3, v5
	;; [unrolled: 1-line block ×4, first 2 shown]
	v_lshlrev_b64 v[0:1], 3, v[1:2]
	v_add_nc_u32_e32 v6, -16, v4
	v_subrev_nc_u32_e32 v7, 32, v4
	v_subrev_nc_u32_e32 v8, 64, v4
	v_add_nc_u32_e32 v9, 0xffffff80, v4
	v_add_co_u32 v2, vcc_lo, s4, v0
	v_add_co_ci_u32_e32 v3, vcc_lo, s5, v1, vcc_lo
	v_cmp_ne_u32_e32 vcc_lo, 0, v5
	v_add_nc_u32_e32 v5, -8, v4
	s_movk_i32 s4, 0x64
	global_load_b64 v[2:3], v[2:3], off
	s_branch .LBB76_2
.LBB76_1:                               ;   in Loop: Header=BB76_2 Depth=1
	s_or_b32 exec_lo, exec_lo, s5
	s_add_i32 s4, s4, -1
	s_delay_alu instid0(SALU_CYCLE_1)
	s_cmp_lg_u32 s4, 0
	s_cbranch_scc0 .LBB76_24
.LBB76_2:                               ; =>This Inner Loop Header: Depth=1
	s_waitcnt vmcnt(0)
	ds_store_b64 v4, v[2:3]
	; wave barrier
	s_and_saveexec_b32 s5, vcc_lo
	s_cbranch_execz .LBB76_4
; %bb.3:                                ;   in Loop: Header=BB76_2 Depth=1
	ds_load_b64 v[10:11], v5
	s_waitcnt lgkmcnt(0)
	v_add_f64 v[2:3], v[2:3], v[10:11]
.LBB76_4:                               ;   in Loop: Header=BB76_2 Depth=1
	s_or_b32 exec_lo, exec_lo, s5
	; wave barrier
	s_and_saveexec_b32 s5, vcc_lo
	s_cbranch_execz .LBB76_6
; %bb.5:                                ;   in Loop: Header=BB76_2 Depth=1
	ds_store_b64 v4, v[2:3]
.LBB76_6:                               ;   in Loop: Header=BB76_2 Depth=1
	s_or_b32 exec_lo, exec_lo, s5
	; wave barrier
	s_and_saveexec_b32 s5, s0
	s_cbranch_execz .LBB76_8
; %bb.7:                                ;   in Loop: Header=BB76_2 Depth=1
	ds_load_b64 v[10:11], v6
	s_waitcnt lgkmcnt(0)
	v_add_f64 v[2:3], v[2:3], v[10:11]
.LBB76_8:                               ;   in Loop: Header=BB76_2 Depth=1
	s_or_b32 exec_lo, exec_lo, s5
	; wave barrier
	s_and_saveexec_b32 s5, s0
	s_cbranch_execz .LBB76_10
; %bb.9:                                ;   in Loop: Header=BB76_2 Depth=1
	ds_store_b64 v4, v[2:3]
.LBB76_10:                              ;   in Loop: Header=BB76_2 Depth=1
	s_or_b32 exec_lo, exec_lo, s5
	; wave barrier
	s_and_saveexec_b32 s5, s1
	s_cbranch_execz .LBB76_12
; %bb.11:                               ;   in Loop: Header=BB76_2 Depth=1
	ds_load_b64 v[10:11], v7
	s_waitcnt lgkmcnt(0)
	v_add_f64 v[2:3], v[2:3], v[10:11]
.LBB76_12:                              ;   in Loop: Header=BB76_2 Depth=1
	s_or_b32 exec_lo, exec_lo, s5
	; wave barrier
	s_and_saveexec_b32 s5, s1
	s_cbranch_execz .LBB76_14
; %bb.13:                               ;   in Loop: Header=BB76_2 Depth=1
	ds_store_b64 v4, v[2:3]
.LBB76_14:                              ;   in Loop: Header=BB76_2 Depth=1
	s_or_b32 exec_lo, exec_lo, s5
	; wave barrier
	s_and_saveexec_b32 s5, s2
	s_cbranch_execz .LBB76_16
; %bb.15:                               ;   in Loop: Header=BB76_2 Depth=1
	ds_load_b64 v[10:11], v8
	s_waitcnt lgkmcnt(0)
	v_add_f64 v[2:3], v[2:3], v[10:11]
.LBB76_16:                              ;   in Loop: Header=BB76_2 Depth=1
	s_or_b32 exec_lo, exec_lo, s5
	; wave barrier
	s_and_saveexec_b32 s5, s2
	s_cbranch_execz .LBB76_18
; %bb.17:                               ;   in Loop: Header=BB76_2 Depth=1
	ds_store_b64 v4, v[2:3]
.LBB76_18:                              ;   in Loop: Header=BB76_2 Depth=1
	;; [unrolled: 16-line block ×3, first 2 shown]
	s_or_b32 exec_lo, exec_lo, s5
	v_dual_mov_b32 v2, s8 :: v_dual_mov_b32 v3, s9
	; wave barrier
	s_and_saveexec_b32 s5, vcc_lo
	s_cbranch_execz .LBB76_1
; %bb.23:                               ;   in Loop: Header=BB76_2 Depth=1
	ds_load_b64 v[2:3], v5
	s_waitcnt lgkmcnt(0)
	v_add_f64 v[2:3], v[2:3], s[8:9]
	s_branch .LBB76_1
.LBB76_24:
	v_add_co_u32 v0, vcc_lo, s6, v0
	v_add_co_ci_u32_e32 v1, vcc_lo, s7, v1, vcc_lo
	global_store_b64 v[0:1], v[2:3], off
	s_nop 0
	s_sendmsg sendmsg(MSG_DEALLOC_VGPRS)
	s_endpgm
	.section	.rodata,"a",@progbits
	.p2align	6, 0x0
	.amdhsa_kernel _Z6kernelI14exclusive_scandLj31ELj100EEvPKT0_PS1_S1_
		.amdhsa_group_segment_fixed_size 248
		.amdhsa_private_segment_fixed_size 0
		.amdhsa_kernarg_size 280
		.amdhsa_user_sgpr_count 15
		.amdhsa_user_sgpr_dispatch_ptr 0
		.amdhsa_user_sgpr_queue_ptr 0
		.amdhsa_user_sgpr_kernarg_segment_ptr 1
		.amdhsa_user_sgpr_dispatch_id 0
		.amdhsa_user_sgpr_private_segment_size 0
		.amdhsa_wavefront_size32 1
		.amdhsa_uses_dynamic_stack 0
		.amdhsa_enable_private_segment 0
		.amdhsa_system_sgpr_workgroup_id_x 1
		.amdhsa_system_sgpr_workgroup_id_y 0
		.amdhsa_system_sgpr_workgroup_id_z 0
		.amdhsa_system_sgpr_workgroup_info 0
		.amdhsa_system_vgpr_workitem_id 0
		.amdhsa_next_free_vgpr 12
		.amdhsa_next_free_sgpr 16
		.amdhsa_reserve_vcc 1
		.amdhsa_float_round_mode_32 0
		.amdhsa_float_round_mode_16_64 0
		.amdhsa_float_denorm_mode_32 3
		.amdhsa_float_denorm_mode_16_64 3
		.amdhsa_dx10_clamp 1
		.amdhsa_ieee_mode 1
		.amdhsa_fp16_overflow 0
		.amdhsa_workgroup_processor_mode 1
		.amdhsa_memory_ordered 1
		.amdhsa_forward_progress 0
		.amdhsa_shared_vgpr_count 0
		.amdhsa_exception_fp_ieee_invalid_op 0
		.amdhsa_exception_fp_denorm_src 0
		.amdhsa_exception_fp_ieee_div_zero 0
		.amdhsa_exception_fp_ieee_overflow 0
		.amdhsa_exception_fp_ieee_underflow 0
		.amdhsa_exception_fp_ieee_inexact 0
		.amdhsa_exception_int_div_zero 0
	.end_amdhsa_kernel
	.section	.text._Z6kernelI14exclusive_scandLj31ELj100EEvPKT0_PS1_S1_,"axG",@progbits,_Z6kernelI14exclusive_scandLj31ELj100EEvPKT0_PS1_S1_,comdat
.Lfunc_end76:
	.size	_Z6kernelI14exclusive_scandLj31ELj100EEvPKT0_PS1_S1_, .Lfunc_end76-_Z6kernelI14exclusive_scandLj31ELj100EEvPKT0_PS1_S1_
                                        ; -- End function
	.section	.AMDGPU.csdata,"",@progbits
; Kernel info:
; codeLenInByte = 556
; NumSgprs: 18
; NumVgprs: 12
; ScratchSize: 0
; MemoryBound: 0
; FloatMode: 240
; IeeeMode: 1
; LDSByteSize: 248 bytes/workgroup (compile time only)
; SGPRBlocks: 2
; VGPRBlocks: 1
; NumSGPRsForWavesPerEU: 18
; NumVGPRsForWavesPerEU: 12
; Occupancy: 16
; WaveLimiterHint : 0
; COMPUTE_PGM_RSRC2:SCRATCH_EN: 0
; COMPUTE_PGM_RSRC2:USER_SGPR: 15
; COMPUTE_PGM_RSRC2:TRAP_HANDLER: 0
; COMPUTE_PGM_RSRC2:TGID_X_EN: 1
; COMPUTE_PGM_RSRC2:TGID_Y_EN: 0
; COMPUTE_PGM_RSRC2:TGID_Z_EN: 0
; COMPUTE_PGM_RSRC2:TIDIG_COMP_CNT: 0
	.section	.text._Z6kernelI14exclusive_scandLj15ELj100EEvPKT0_PS1_S1_,"axG",@progbits,_Z6kernelI14exclusive_scandLj15ELj100EEvPKT0_PS1_S1_,comdat
	.protected	_Z6kernelI14exclusive_scandLj15ELj100EEvPKT0_PS1_S1_ ; -- Begin function _Z6kernelI14exclusive_scandLj15ELj100EEvPKT0_PS1_S1_
	.globl	_Z6kernelI14exclusive_scandLj15ELj100EEvPKT0_PS1_S1_
	.p2align	8
	.type	_Z6kernelI14exclusive_scandLj15ELj100EEvPKT0_PS1_S1_,@function
_Z6kernelI14exclusive_scandLj15ELj100EEvPKT0_PS1_S1_: ; @_Z6kernelI14exclusive_scandLj15ELj100EEvPKT0_PS1_S1_
; %bb.0:
	s_clause 0x1
	s_load_b32 s2, s[0:1], 0x24
	s_load_b128 s[4:7], s[0:1], 0x0
	v_mbcnt_lo_u32_b32 v4, -1, 0
	s_load_b64 s[8:9], s[0:1], 0x10
	s_movk_i32 s3, 0x64
	s_delay_alu instid0(VALU_DEP_1) | instskip(NEXT) | instid1(VALU_DEP_1)
	v_mul_hi_u32 v5, 0x11111112, v4
	v_mul_u32_u24_e32 v5, 15, v5
	s_delay_alu instid0(VALU_DEP_1) | instskip(SKIP_2) | instid1(SALU_CYCLE_1)
	v_sub_nc_u32_e32 v5, v4, v5
	s_waitcnt lgkmcnt(0)
	s_and_b32 s2, s2, 0xffff
	v_mad_u64_u32 v[1:2], null, s15, s2, v[0:1]
	s_delay_alu instid0(VALU_DEP_2)
	v_lshlrev_b32_e32 v4, 3, v5
	v_mov_b32_e32 v2, 0
	v_cmp_lt_u32_e64 s0, 1, v5
	v_cmp_lt_u32_e64 s1, 3, v5
	;; [unrolled: 1-line block ×3, first 2 shown]
	v_add_nc_u32_e32 v6, -16, v4
	v_lshlrev_b64 v[0:1], 3, v[1:2]
	v_subrev_nc_u32_e32 v7, 32, v4
	v_subrev_nc_u32_e32 v8, 64, v4
	s_delay_alu instid0(VALU_DEP_3) | instskip(NEXT) | instid1(VALU_DEP_4)
	v_add_co_u32 v2, vcc_lo, s4, v0
	v_add_co_ci_u32_e32 v3, vcc_lo, s5, v1, vcc_lo
	v_cmp_ne_u32_e32 vcc_lo, 0, v5
	v_add_nc_u32_e32 v5, -8, v4
	global_load_b64 v[2:3], v[2:3], off
	s_branch .LBB77_2
.LBB77_1:                               ;   in Loop: Header=BB77_2 Depth=1
	s_or_b32 exec_lo, exec_lo, s4
	s_add_i32 s3, s3, -1
	s_delay_alu instid0(SALU_CYCLE_1)
	s_cmp_lg_u32 s3, 0
	s_cbranch_scc0 .LBB77_20
.LBB77_2:                               ; =>This Inner Loop Header: Depth=1
	s_waitcnt vmcnt(0)
	ds_store_b64 v4, v[2:3]
	; wave barrier
	s_and_saveexec_b32 s4, vcc_lo
	s_cbranch_execz .LBB77_4
; %bb.3:                                ;   in Loop: Header=BB77_2 Depth=1
	ds_load_b64 v[9:10], v5
	s_waitcnt lgkmcnt(0)
	v_add_f64 v[2:3], v[2:3], v[9:10]
.LBB77_4:                               ;   in Loop: Header=BB77_2 Depth=1
	s_or_b32 exec_lo, exec_lo, s4
	; wave barrier
	s_and_saveexec_b32 s4, vcc_lo
	s_cbranch_execz .LBB77_6
; %bb.5:                                ;   in Loop: Header=BB77_2 Depth=1
	ds_store_b64 v4, v[2:3]
.LBB77_6:                               ;   in Loop: Header=BB77_2 Depth=1
	s_or_b32 exec_lo, exec_lo, s4
	; wave barrier
	s_and_saveexec_b32 s4, s0
	s_cbranch_execz .LBB77_8
; %bb.7:                                ;   in Loop: Header=BB77_2 Depth=1
	ds_load_b64 v[9:10], v6
	s_waitcnt lgkmcnt(0)
	v_add_f64 v[2:3], v[2:3], v[9:10]
.LBB77_8:                               ;   in Loop: Header=BB77_2 Depth=1
	s_or_b32 exec_lo, exec_lo, s4
	; wave barrier
	s_and_saveexec_b32 s4, s0
	s_cbranch_execz .LBB77_10
; %bb.9:                                ;   in Loop: Header=BB77_2 Depth=1
	ds_store_b64 v4, v[2:3]
.LBB77_10:                              ;   in Loop: Header=BB77_2 Depth=1
	s_or_b32 exec_lo, exec_lo, s4
	; wave barrier
	s_and_saveexec_b32 s4, s1
	s_cbranch_execz .LBB77_12
; %bb.11:                               ;   in Loop: Header=BB77_2 Depth=1
	ds_load_b64 v[9:10], v7
	s_waitcnt lgkmcnt(0)
	v_add_f64 v[2:3], v[2:3], v[9:10]
.LBB77_12:                              ;   in Loop: Header=BB77_2 Depth=1
	s_or_b32 exec_lo, exec_lo, s4
	; wave barrier
	s_and_saveexec_b32 s4, s1
	s_cbranch_execz .LBB77_14
; %bb.13:                               ;   in Loop: Header=BB77_2 Depth=1
	ds_store_b64 v4, v[2:3]
.LBB77_14:                              ;   in Loop: Header=BB77_2 Depth=1
	s_or_b32 exec_lo, exec_lo, s4
	; wave barrier
	s_and_saveexec_b32 s4, s2
	s_cbranch_execz .LBB77_16
; %bb.15:                               ;   in Loop: Header=BB77_2 Depth=1
	ds_load_b64 v[9:10], v8
	s_waitcnt lgkmcnt(0)
	v_add_f64 v[2:3], v[2:3], v[9:10]
.LBB77_16:                              ;   in Loop: Header=BB77_2 Depth=1
	s_or_b32 exec_lo, exec_lo, s4
	; wave barrier
	s_and_saveexec_b32 s4, s2
	s_cbranch_execz .LBB77_18
; %bb.17:                               ;   in Loop: Header=BB77_2 Depth=1
	ds_store_b64 v4, v[2:3]
.LBB77_18:                              ;   in Loop: Header=BB77_2 Depth=1
	s_or_b32 exec_lo, exec_lo, s4
	v_dual_mov_b32 v2, s8 :: v_dual_mov_b32 v3, s9
	; wave barrier
	s_and_saveexec_b32 s4, vcc_lo
	s_cbranch_execz .LBB77_1
; %bb.19:                               ;   in Loop: Header=BB77_2 Depth=1
	ds_load_b64 v[2:3], v5
	s_waitcnt lgkmcnt(0)
	v_add_f64 v[2:3], v[2:3], s[8:9]
	s_branch .LBB77_1
.LBB77_20:
	v_add_co_u32 v0, vcc_lo, s6, v0
	v_add_co_ci_u32_e32 v1, vcc_lo, s7, v1, vcc_lo
	global_store_b64 v[0:1], v[2:3], off
	s_nop 0
	s_sendmsg sendmsg(MSG_DEALLOC_VGPRS)
	s_endpgm
	.section	.rodata,"a",@progbits
	.p2align	6, 0x0
	.amdhsa_kernel _Z6kernelI14exclusive_scandLj15ELj100EEvPKT0_PS1_S1_
		.amdhsa_group_segment_fixed_size 120
		.amdhsa_private_segment_fixed_size 0
		.amdhsa_kernarg_size 280
		.amdhsa_user_sgpr_count 15
		.amdhsa_user_sgpr_dispatch_ptr 0
		.amdhsa_user_sgpr_queue_ptr 0
		.amdhsa_user_sgpr_kernarg_segment_ptr 1
		.amdhsa_user_sgpr_dispatch_id 0
		.amdhsa_user_sgpr_private_segment_size 0
		.amdhsa_wavefront_size32 1
		.amdhsa_uses_dynamic_stack 0
		.amdhsa_enable_private_segment 0
		.amdhsa_system_sgpr_workgroup_id_x 1
		.amdhsa_system_sgpr_workgroup_id_y 0
		.amdhsa_system_sgpr_workgroup_id_z 0
		.amdhsa_system_sgpr_workgroup_info 0
		.amdhsa_system_vgpr_workitem_id 0
		.amdhsa_next_free_vgpr 11
		.amdhsa_next_free_sgpr 16
		.amdhsa_reserve_vcc 1
		.amdhsa_float_round_mode_32 0
		.amdhsa_float_round_mode_16_64 0
		.amdhsa_float_denorm_mode_32 3
		.amdhsa_float_denorm_mode_16_64 3
		.amdhsa_dx10_clamp 1
		.amdhsa_ieee_mode 1
		.amdhsa_fp16_overflow 0
		.amdhsa_workgroup_processor_mode 1
		.amdhsa_memory_ordered 1
		.amdhsa_forward_progress 0
		.amdhsa_shared_vgpr_count 0
		.amdhsa_exception_fp_ieee_invalid_op 0
		.amdhsa_exception_fp_denorm_src 0
		.amdhsa_exception_fp_ieee_div_zero 0
		.amdhsa_exception_fp_ieee_overflow 0
		.amdhsa_exception_fp_ieee_underflow 0
		.amdhsa_exception_fp_ieee_inexact 0
		.amdhsa_exception_int_div_zero 0
	.end_amdhsa_kernel
	.section	.text._Z6kernelI14exclusive_scandLj15ELj100EEvPKT0_PS1_S1_,"axG",@progbits,_Z6kernelI14exclusive_scandLj15ELj100EEvPKT0_PS1_S1_,comdat
.Lfunc_end77:
	.size	_Z6kernelI14exclusive_scandLj15ELj100EEvPKT0_PS1_S1_, .Lfunc_end77-_Z6kernelI14exclusive_scandLj15ELj100EEvPKT0_PS1_S1_
                                        ; -- End function
	.section	.AMDGPU.csdata,"",@progbits
; Kernel info:
; codeLenInByte = 492
; NumSgprs: 18
; NumVgprs: 11
; ScratchSize: 0
; MemoryBound: 0
; FloatMode: 240
; IeeeMode: 1
; LDSByteSize: 120 bytes/workgroup (compile time only)
; SGPRBlocks: 2
; VGPRBlocks: 1
; NumSGPRsForWavesPerEU: 18
; NumVGPRsForWavesPerEU: 11
; Occupancy: 16
; WaveLimiterHint : 0
; COMPUTE_PGM_RSRC2:SCRATCH_EN: 0
; COMPUTE_PGM_RSRC2:USER_SGPR: 15
; COMPUTE_PGM_RSRC2:TRAP_HANDLER: 0
; COMPUTE_PGM_RSRC2:TGID_X_EN: 1
; COMPUTE_PGM_RSRC2:TGID_Y_EN: 0
; COMPUTE_PGM_RSRC2:TGID_Z_EN: 0
; COMPUTE_PGM_RSRC2:TIDIG_COMP_CNT: 0
	.section	.text._Z6kernelI14exclusive_scanaLj64ELj100EEvPKT0_PS1_S1_,"axG",@progbits,_Z6kernelI14exclusive_scanaLj64ELj100EEvPKT0_PS1_S1_,comdat
	.protected	_Z6kernelI14exclusive_scanaLj64ELj100EEvPKT0_PS1_S1_ ; -- Begin function _Z6kernelI14exclusive_scanaLj64ELj100EEvPKT0_PS1_S1_
	.globl	_Z6kernelI14exclusive_scanaLj64ELj100EEvPKT0_PS1_S1_
	.p2align	8
	.type	_Z6kernelI14exclusive_scanaLj64ELj100EEvPKT0_PS1_S1_,@function
_Z6kernelI14exclusive_scanaLj64ELj100EEvPKT0_PS1_S1_: ; @_Z6kernelI14exclusive_scanaLj64ELj100EEvPKT0_PS1_S1_
; %bb.0:
	s_clause 0x1
	s_load_b32 s4, s[0:1], 0x24
	s_load_b128 s[0:3], s[0:1], 0x0
	s_waitcnt lgkmcnt(0)
	s_and_b32 s4, s4, 0xffff
	s_delay_alu instid0(SALU_CYCLE_1)
	v_mad_u64_u32 v[1:2], null, s15, s4, v[0:1]
	global_load_u8 v0, v1, s[0:1]
	s_waitcnt vmcnt(0)
	global_store_b8 v1, v0, s[2:3]
	s_nop 0
	s_sendmsg sendmsg(MSG_DEALLOC_VGPRS)
	s_endpgm
	.section	.rodata,"a",@progbits
	.p2align	6, 0x0
	.amdhsa_kernel _Z6kernelI14exclusive_scanaLj64ELj100EEvPKT0_PS1_S1_
		.amdhsa_group_segment_fixed_size 0
		.amdhsa_private_segment_fixed_size 0
		.amdhsa_kernarg_size 280
		.amdhsa_user_sgpr_count 15
		.amdhsa_user_sgpr_dispatch_ptr 0
		.amdhsa_user_sgpr_queue_ptr 0
		.amdhsa_user_sgpr_kernarg_segment_ptr 1
		.amdhsa_user_sgpr_dispatch_id 0
		.amdhsa_user_sgpr_private_segment_size 0
		.amdhsa_wavefront_size32 1
		.amdhsa_uses_dynamic_stack 0
		.amdhsa_enable_private_segment 0
		.amdhsa_system_sgpr_workgroup_id_x 1
		.amdhsa_system_sgpr_workgroup_id_y 0
		.amdhsa_system_sgpr_workgroup_id_z 0
		.amdhsa_system_sgpr_workgroup_info 0
		.amdhsa_system_vgpr_workitem_id 0
		.amdhsa_next_free_vgpr 3
		.amdhsa_next_free_sgpr 16
		.amdhsa_reserve_vcc 0
		.amdhsa_float_round_mode_32 0
		.amdhsa_float_round_mode_16_64 0
		.amdhsa_float_denorm_mode_32 3
		.amdhsa_float_denorm_mode_16_64 3
		.amdhsa_dx10_clamp 1
		.amdhsa_ieee_mode 1
		.amdhsa_fp16_overflow 0
		.amdhsa_workgroup_processor_mode 1
		.amdhsa_memory_ordered 1
		.amdhsa_forward_progress 0
		.amdhsa_shared_vgpr_count 0
		.amdhsa_exception_fp_ieee_invalid_op 0
		.amdhsa_exception_fp_denorm_src 0
		.amdhsa_exception_fp_ieee_div_zero 0
		.amdhsa_exception_fp_ieee_overflow 0
		.amdhsa_exception_fp_ieee_underflow 0
		.amdhsa_exception_fp_ieee_inexact 0
		.amdhsa_exception_int_div_zero 0
	.end_amdhsa_kernel
	.section	.text._Z6kernelI14exclusive_scanaLj64ELj100EEvPKT0_PS1_S1_,"axG",@progbits,_Z6kernelI14exclusive_scanaLj64ELj100EEvPKT0_PS1_S1_,comdat
.Lfunc_end78:
	.size	_Z6kernelI14exclusive_scanaLj64ELj100EEvPKT0_PS1_S1_, .Lfunc_end78-_Z6kernelI14exclusive_scanaLj64ELj100EEvPKT0_PS1_S1_
                                        ; -- End function
	.section	.AMDGPU.csdata,"",@progbits
; Kernel info:
; codeLenInByte = 76
; NumSgprs: 16
; NumVgprs: 3
; ScratchSize: 0
; MemoryBound: 0
; FloatMode: 240
; IeeeMode: 1
; LDSByteSize: 0 bytes/workgroup (compile time only)
; SGPRBlocks: 1
; VGPRBlocks: 0
; NumSGPRsForWavesPerEU: 16
; NumVGPRsForWavesPerEU: 3
; Occupancy: 16
; WaveLimiterHint : 0
; COMPUTE_PGM_RSRC2:SCRATCH_EN: 0
; COMPUTE_PGM_RSRC2:USER_SGPR: 15
; COMPUTE_PGM_RSRC2:TRAP_HANDLER: 0
; COMPUTE_PGM_RSRC2:TGID_X_EN: 1
; COMPUTE_PGM_RSRC2:TGID_Y_EN: 0
; COMPUTE_PGM_RSRC2:TGID_Z_EN: 0
; COMPUTE_PGM_RSRC2:TIDIG_COMP_CNT: 0
	.section	.text._Z6kernelI14exclusive_scanaLj32ELj100EEvPKT0_PS1_S1_,"axG",@progbits,_Z6kernelI14exclusive_scanaLj32ELj100EEvPKT0_PS1_S1_,comdat
	.protected	_Z6kernelI14exclusive_scanaLj32ELj100EEvPKT0_PS1_S1_ ; -- Begin function _Z6kernelI14exclusive_scanaLj32ELj100EEvPKT0_PS1_S1_
	.globl	_Z6kernelI14exclusive_scanaLj32ELj100EEvPKT0_PS1_S1_
	.p2align	8
	.type	_Z6kernelI14exclusive_scanaLj32ELj100EEvPKT0_PS1_S1_,@function
_Z6kernelI14exclusive_scanaLj32ELj100EEvPKT0_PS1_S1_: ; @_Z6kernelI14exclusive_scanaLj32ELj100EEvPKT0_PS1_S1_
; %bb.0:
	s_clause 0x1
	s_load_b32 s2, s[0:1], 0x24
	s_load_b128 s[4:7], s[0:1], 0x0
	v_mbcnt_lo_u32_b32 v3, -1, 0
	s_load_b32 s8, s[0:1], 0x10
	s_delay_alu instid0(VALU_DEP_1) | instskip(SKIP_1) | instid1(VALU_DEP_2)
	v_add_nc_u32_e32 v4, -1, v3
	v_and_b32_e32 v5, 16, v3
	v_cmp_gt_i32_e64 s0, 0, v4
	s_delay_alu instid0(VALU_DEP_2) | instskip(NEXT) | instid1(VALU_DEP_2)
	v_cmp_eq_u32_e64 s3, 0, v5
	v_cndmask_b32_e64 v4, v4, v3, s0
	s_waitcnt lgkmcnt(0)
	s_and_b32 s2, s2, 0xffff
	s_delay_alu instid0(SALU_CYCLE_1) | instskip(SKIP_1) | instid1(VALU_DEP_1)
	v_mad_u64_u32 v[1:2], null, s15, s2, v[0:1]
	v_and_b32_e32 v2, 15, v3
	v_cmp_eq_u32_e32 vcc_lo, 0, v2
	global_load_u8 v0, v1, s[4:5]
	v_cmp_lt_u32_e64 s0, 1, v2
	v_cmp_lt_u32_e64 s1, 3, v2
	;; [unrolled: 1-line block ×3, first 2 shown]
	v_lshlrev_b32_e32 v2, 2, v4
	v_cmp_eq_u32_e64 s4, 0, v3
	s_movk_i32 s5, 0x64
.LBB79_1:                               ; =>This Inner Loop Header: Depth=1
	s_waitcnt vmcnt(0)
	s_delay_alu instid0(VALU_DEP_1) | instskip(SKIP_1) | instid1(SALU_CYCLE_1)
	v_and_b32_e32 v3, 0xff, v0
	s_add_i32 s5, s5, -1
	s_cmp_lg_u32 s5, 0
	s_delay_alu instid0(VALU_DEP_1) | instskip(NEXT) | instid1(VALU_DEP_1)
	v_mov_b32_dpp v3, v3 row_shr:1 row_mask:0xf bank_mask:0xf
	v_cndmask_b32_e64 v3, v3, 0, vcc_lo
	s_delay_alu instid0(VALU_DEP_1) | instskip(NEXT) | instid1(VALU_DEP_1)
	v_add_nc_u16 v0, v3, v0
	v_and_b32_e32 v3, 0xff, v0
	s_delay_alu instid0(VALU_DEP_1) | instskip(NEXT) | instid1(VALU_DEP_1)
	v_mov_b32_dpp v3, v3 row_shr:2 row_mask:0xf bank_mask:0xf
	v_cndmask_b32_e64 v3, 0, v3, s0
	s_delay_alu instid0(VALU_DEP_1) | instskip(NEXT) | instid1(VALU_DEP_1)
	v_add_nc_u16 v0, v0, v3
	v_and_b32_e32 v3, 0xff, v0
	s_delay_alu instid0(VALU_DEP_1) | instskip(NEXT) | instid1(VALU_DEP_1)
	v_mov_b32_dpp v3, v3 row_shr:4 row_mask:0xf bank_mask:0xf
	v_cndmask_b32_e64 v3, 0, v3, s1
	;; [unrolled: 6-line block ×3, first 2 shown]
	s_delay_alu instid0(VALU_DEP_1) | instskip(NEXT) | instid1(VALU_DEP_1)
	v_add_nc_u16 v0, v0, v3
	v_and_b32_e32 v3, 0xff, v0
	ds_swizzle_b32 v3, v3 offset:swizzle(BROADCAST,32,15)
	s_waitcnt lgkmcnt(0)
	v_cndmask_b32_e64 v3, v3, 0, s3
	s_delay_alu instid0(VALU_DEP_1) | instskip(NEXT) | instid1(VALU_DEP_1)
	v_add_nc_u16 v3, v3, s8
	v_add_nc_u16 v0, v3, v0
	s_delay_alu instid0(VALU_DEP_1)
	v_and_b32_e32 v0, 0xff, v0
	ds_bpermute_b32 v0, v2, v0
	s_waitcnt lgkmcnt(0)
	v_cndmask_b32_e64 v0, v0, s8, s4
	s_cbranch_scc1 .LBB79_1
; %bb.2:
	v_add_co_u32 v1, s0, s6, v1
	s_delay_alu instid0(VALU_DEP_1)
	v_add_co_ci_u32_e64 v2, null, s7, 0, s0
	global_store_b8 v[1:2], v0, off
	s_nop 0
	s_sendmsg sendmsg(MSG_DEALLOC_VGPRS)
	s_endpgm
	.section	.rodata,"a",@progbits
	.p2align	6, 0x0
	.amdhsa_kernel _Z6kernelI14exclusive_scanaLj32ELj100EEvPKT0_PS1_S1_
		.amdhsa_group_segment_fixed_size 0
		.amdhsa_private_segment_fixed_size 0
		.amdhsa_kernarg_size 280
		.amdhsa_user_sgpr_count 15
		.amdhsa_user_sgpr_dispatch_ptr 0
		.amdhsa_user_sgpr_queue_ptr 0
		.amdhsa_user_sgpr_kernarg_segment_ptr 1
		.amdhsa_user_sgpr_dispatch_id 0
		.amdhsa_user_sgpr_private_segment_size 0
		.amdhsa_wavefront_size32 1
		.amdhsa_uses_dynamic_stack 0
		.amdhsa_enable_private_segment 0
		.amdhsa_system_sgpr_workgroup_id_x 1
		.amdhsa_system_sgpr_workgroup_id_y 0
		.amdhsa_system_sgpr_workgroup_id_z 0
		.amdhsa_system_sgpr_workgroup_info 0
		.amdhsa_system_vgpr_workitem_id 0
		.amdhsa_next_free_vgpr 6
		.amdhsa_next_free_sgpr 16
		.amdhsa_reserve_vcc 1
		.amdhsa_float_round_mode_32 0
		.amdhsa_float_round_mode_16_64 0
		.amdhsa_float_denorm_mode_32 3
		.amdhsa_float_denorm_mode_16_64 3
		.amdhsa_dx10_clamp 1
		.amdhsa_ieee_mode 1
		.amdhsa_fp16_overflow 0
		.amdhsa_workgroup_processor_mode 1
		.amdhsa_memory_ordered 1
		.amdhsa_forward_progress 0
		.amdhsa_shared_vgpr_count 0
		.amdhsa_exception_fp_ieee_invalid_op 0
		.amdhsa_exception_fp_denorm_src 0
		.amdhsa_exception_fp_ieee_div_zero 0
		.amdhsa_exception_fp_ieee_overflow 0
		.amdhsa_exception_fp_ieee_underflow 0
		.amdhsa_exception_fp_ieee_inexact 0
		.amdhsa_exception_int_div_zero 0
	.end_amdhsa_kernel
	.section	.text._Z6kernelI14exclusive_scanaLj32ELj100EEvPKT0_PS1_S1_,"axG",@progbits,_Z6kernelI14exclusive_scanaLj32ELj100EEvPKT0_PS1_S1_,comdat
.Lfunc_end79:
	.size	_Z6kernelI14exclusive_scanaLj32ELj100EEvPKT0_PS1_S1_, .Lfunc_end79-_Z6kernelI14exclusive_scanaLj32ELj100EEvPKT0_PS1_S1_
                                        ; -- End function
	.section	.AMDGPU.csdata,"",@progbits
; Kernel info:
; codeLenInByte = 456
; NumSgprs: 18
; NumVgprs: 6
; ScratchSize: 0
; MemoryBound: 0
; FloatMode: 240
; IeeeMode: 1
; LDSByteSize: 0 bytes/workgroup (compile time only)
; SGPRBlocks: 2
; VGPRBlocks: 0
; NumSGPRsForWavesPerEU: 18
; NumVGPRsForWavesPerEU: 6
; Occupancy: 16
; WaveLimiterHint : 0
; COMPUTE_PGM_RSRC2:SCRATCH_EN: 0
; COMPUTE_PGM_RSRC2:USER_SGPR: 15
; COMPUTE_PGM_RSRC2:TRAP_HANDLER: 0
; COMPUTE_PGM_RSRC2:TGID_X_EN: 1
; COMPUTE_PGM_RSRC2:TGID_Y_EN: 0
; COMPUTE_PGM_RSRC2:TGID_Z_EN: 0
; COMPUTE_PGM_RSRC2:TIDIG_COMP_CNT: 0
	.section	.text._Z6kernelI14exclusive_scanaLj16ELj100EEvPKT0_PS1_S1_,"axG",@progbits,_Z6kernelI14exclusive_scanaLj16ELj100EEvPKT0_PS1_S1_,comdat
	.protected	_Z6kernelI14exclusive_scanaLj16ELj100EEvPKT0_PS1_S1_ ; -- Begin function _Z6kernelI14exclusive_scanaLj16ELj100EEvPKT0_PS1_S1_
	.globl	_Z6kernelI14exclusive_scanaLj16ELj100EEvPKT0_PS1_S1_
	.p2align	8
	.type	_Z6kernelI14exclusive_scanaLj16ELj100EEvPKT0_PS1_S1_,@function
_Z6kernelI14exclusive_scanaLj16ELj100EEvPKT0_PS1_S1_: ; @_Z6kernelI14exclusive_scanaLj16ELj100EEvPKT0_PS1_S1_
; %bb.0:
	s_clause 0x2
	s_load_b32 s2, s[0:1], 0x24
	s_load_b128 s[4:7], s[0:1], 0x0
	s_load_b32 s3, s[0:1], 0x10
	s_waitcnt lgkmcnt(0)
	s_and_b32 s2, s2, 0xffff
	s_delay_alu instid0(SALU_CYCLE_1) | instskip(SKIP_1) | instid1(VALU_DEP_1)
	v_mad_u64_u32 v[1:2], null, s15, s2, v[0:1]
	v_mbcnt_lo_u32_b32 v2, -1, 0
	v_add_nc_u32_e32 v3, -1, v2
	global_load_u8 v0, v1, s[4:5]
	v_and_b32_e32 v4, 16, v2
	v_and_b32_e32 v5, 15, v2
	s_movk_i32 s4, 0x64
	s_delay_alu instid0(VALU_DEP_2) | instskip(NEXT) | instid1(VALU_DEP_2)
	v_cmp_lt_i32_e32 vcc_lo, v3, v4
	v_cmp_lt_u32_e64 s0, 1, v5
	v_cmp_lt_u32_e64 s1, 3, v5
	;; [unrolled: 1-line block ×3, first 2 shown]
	v_cndmask_b32_e32 v2, v3, v2, vcc_lo
	v_cmp_eq_u32_e32 vcc_lo, 0, v5
	s_delay_alu instid0(VALU_DEP_2)
	v_lshlrev_b32_e32 v2, 2, v2
	s_set_inst_prefetch_distance 0x1
	.p2align	6
.LBB80_1:                               ; =>This Inner Loop Header: Depth=1
	s_waitcnt vmcnt(0)
	s_delay_alu instid0(VALU_DEP_1) | instskip(SKIP_1) | instid1(SALU_CYCLE_1)
	v_and_b32_e32 v3, 0xff, v0
	s_add_i32 s4, s4, -1
	s_cmp_lg_u32 s4, 0
	s_delay_alu instid0(VALU_DEP_1) | instskip(NEXT) | instid1(VALU_DEP_1)
	v_mov_b32_dpp v3, v3 row_shr:1 row_mask:0xf bank_mask:0xf
	v_cndmask_b32_e64 v3, v3, 0, vcc_lo
	s_delay_alu instid0(VALU_DEP_1) | instskip(NEXT) | instid1(VALU_DEP_1)
	v_add_nc_u16 v0, v3, v0
	v_and_b32_e32 v3, 0xff, v0
	s_delay_alu instid0(VALU_DEP_1) | instskip(NEXT) | instid1(VALU_DEP_1)
	v_mov_b32_dpp v3, v3 row_shr:2 row_mask:0xf bank_mask:0xf
	v_cndmask_b32_e64 v3, 0, v3, s0
	s_delay_alu instid0(VALU_DEP_1) | instskip(NEXT) | instid1(VALU_DEP_1)
	v_add_nc_u16 v0, v0, v3
	v_and_b32_e32 v3, 0xff, v0
	s_delay_alu instid0(VALU_DEP_1) | instskip(NEXT) | instid1(VALU_DEP_1)
	v_mov_b32_dpp v3, v3 row_shr:4 row_mask:0xf bank_mask:0xf
	v_cndmask_b32_e64 v3, 0, v3, s1
	;; [unrolled: 6-line block ×3, first 2 shown]
	s_delay_alu instid0(VALU_DEP_1) | instskip(NEXT) | instid1(VALU_DEP_1)
	v_add_nc_u16 v3, v3, s3
	v_add_nc_u16 v0, v3, v0
	s_delay_alu instid0(VALU_DEP_1)
	v_and_b32_e32 v0, 0xff, v0
	ds_bpermute_b32 v0, v2, v0
	s_waitcnt lgkmcnt(0)
	v_cndmask_b32_e64 v0, v0, s3, vcc_lo
	s_cbranch_scc1 .LBB80_1
; %bb.2:
	s_set_inst_prefetch_distance 0x2
	v_add_co_u32 v1, s0, s6, v1
	s_delay_alu instid0(VALU_DEP_1)
	v_add_co_ci_u32_e64 v2, null, s7, 0, s0
	global_store_b8 v[1:2], v0, off
	s_nop 0
	s_sendmsg sendmsg(MSG_DEALLOC_VGPRS)
	s_endpgm
	.section	.rodata,"a",@progbits
	.p2align	6, 0x0
	.amdhsa_kernel _Z6kernelI14exclusive_scanaLj16ELj100EEvPKT0_PS1_S1_
		.amdhsa_group_segment_fixed_size 0
		.amdhsa_private_segment_fixed_size 0
		.amdhsa_kernarg_size 280
		.amdhsa_user_sgpr_count 15
		.amdhsa_user_sgpr_dispatch_ptr 0
		.amdhsa_user_sgpr_queue_ptr 0
		.amdhsa_user_sgpr_kernarg_segment_ptr 1
		.amdhsa_user_sgpr_dispatch_id 0
		.amdhsa_user_sgpr_private_segment_size 0
		.amdhsa_wavefront_size32 1
		.amdhsa_uses_dynamic_stack 0
		.amdhsa_enable_private_segment 0
		.amdhsa_system_sgpr_workgroup_id_x 1
		.amdhsa_system_sgpr_workgroup_id_y 0
		.amdhsa_system_sgpr_workgroup_id_z 0
		.amdhsa_system_sgpr_workgroup_info 0
		.amdhsa_system_vgpr_workitem_id 0
		.amdhsa_next_free_vgpr 6
		.amdhsa_next_free_sgpr 16
		.amdhsa_reserve_vcc 1
		.amdhsa_float_round_mode_32 0
		.amdhsa_float_round_mode_16_64 0
		.amdhsa_float_denorm_mode_32 3
		.amdhsa_float_denorm_mode_16_64 3
		.amdhsa_dx10_clamp 1
		.amdhsa_ieee_mode 1
		.amdhsa_fp16_overflow 0
		.amdhsa_workgroup_processor_mode 1
		.amdhsa_memory_ordered 1
		.amdhsa_forward_progress 0
		.amdhsa_shared_vgpr_count 0
		.amdhsa_exception_fp_ieee_invalid_op 0
		.amdhsa_exception_fp_denorm_src 0
		.amdhsa_exception_fp_ieee_div_zero 0
		.amdhsa_exception_fp_ieee_overflow 0
		.amdhsa_exception_fp_ieee_underflow 0
		.amdhsa_exception_fp_ieee_inexact 0
		.amdhsa_exception_int_div_zero 0
	.end_amdhsa_kernel
	.section	.text._Z6kernelI14exclusive_scanaLj16ELj100EEvPKT0_PS1_S1_,"axG",@progbits,_Z6kernelI14exclusive_scanaLj16ELj100EEvPKT0_PS1_S1_,comdat
.Lfunc_end80:
	.size	_Z6kernelI14exclusive_scanaLj16ELj100EEvPKT0_PS1_S1_, .Lfunc_end80-_Z6kernelI14exclusive_scanaLj16ELj100EEvPKT0_PS1_S1_
                                        ; -- End function
	.section	.AMDGPU.csdata,"",@progbits
; Kernel info:
; codeLenInByte = 400
; NumSgprs: 18
; NumVgprs: 6
; ScratchSize: 0
; MemoryBound: 0
; FloatMode: 240
; IeeeMode: 1
; LDSByteSize: 0 bytes/workgroup (compile time only)
; SGPRBlocks: 2
; VGPRBlocks: 0
; NumSGPRsForWavesPerEU: 18
; NumVGPRsForWavesPerEU: 6
; Occupancy: 16
; WaveLimiterHint : 0
; COMPUTE_PGM_RSRC2:SCRATCH_EN: 0
; COMPUTE_PGM_RSRC2:USER_SGPR: 15
; COMPUTE_PGM_RSRC2:TRAP_HANDLER: 0
; COMPUTE_PGM_RSRC2:TGID_X_EN: 1
; COMPUTE_PGM_RSRC2:TGID_Y_EN: 0
; COMPUTE_PGM_RSRC2:TGID_Z_EN: 0
; COMPUTE_PGM_RSRC2:TIDIG_COMP_CNT: 0
	.section	.text._Z6kernelI14exclusive_scanaLj63ELj100EEvPKT0_PS1_S1_,"axG",@progbits,_Z6kernelI14exclusive_scanaLj63ELj100EEvPKT0_PS1_S1_,comdat
	.protected	_Z6kernelI14exclusive_scanaLj63ELj100EEvPKT0_PS1_S1_ ; -- Begin function _Z6kernelI14exclusive_scanaLj63ELj100EEvPKT0_PS1_S1_
	.globl	_Z6kernelI14exclusive_scanaLj63ELj100EEvPKT0_PS1_S1_
	.p2align	8
	.type	_Z6kernelI14exclusive_scanaLj63ELj100EEvPKT0_PS1_S1_,@function
_Z6kernelI14exclusive_scanaLj63ELj100EEvPKT0_PS1_S1_: ; @_Z6kernelI14exclusive_scanaLj63ELj100EEvPKT0_PS1_S1_
; %bb.0:
	s_clause 0x1
	s_load_b32 s4, s[0:1], 0x24
	s_load_b128 s[0:3], s[0:1], 0x0
	s_waitcnt lgkmcnt(0)
	s_and_b32 s4, s4, 0xffff
	s_delay_alu instid0(SALU_CYCLE_1)
	v_mad_u64_u32 v[1:2], null, s15, s4, v[0:1]
	global_load_u8 v0, v1, s[0:1]
	s_waitcnt vmcnt(0)
	global_store_b8 v1, v0, s[2:3]
	s_nop 0
	s_sendmsg sendmsg(MSG_DEALLOC_VGPRS)
	s_endpgm
	.section	.rodata,"a",@progbits
	.p2align	6, 0x0
	.amdhsa_kernel _Z6kernelI14exclusive_scanaLj63ELj100EEvPKT0_PS1_S1_
		.amdhsa_group_segment_fixed_size 0
		.amdhsa_private_segment_fixed_size 0
		.amdhsa_kernarg_size 280
		.amdhsa_user_sgpr_count 15
		.amdhsa_user_sgpr_dispatch_ptr 0
		.amdhsa_user_sgpr_queue_ptr 0
		.amdhsa_user_sgpr_kernarg_segment_ptr 1
		.amdhsa_user_sgpr_dispatch_id 0
		.amdhsa_user_sgpr_private_segment_size 0
		.amdhsa_wavefront_size32 1
		.amdhsa_uses_dynamic_stack 0
		.amdhsa_enable_private_segment 0
		.amdhsa_system_sgpr_workgroup_id_x 1
		.amdhsa_system_sgpr_workgroup_id_y 0
		.amdhsa_system_sgpr_workgroup_id_z 0
		.amdhsa_system_sgpr_workgroup_info 0
		.amdhsa_system_vgpr_workitem_id 0
		.amdhsa_next_free_vgpr 3
		.amdhsa_next_free_sgpr 16
		.amdhsa_reserve_vcc 0
		.amdhsa_float_round_mode_32 0
		.amdhsa_float_round_mode_16_64 0
		.amdhsa_float_denorm_mode_32 3
		.amdhsa_float_denorm_mode_16_64 3
		.amdhsa_dx10_clamp 1
		.amdhsa_ieee_mode 1
		.amdhsa_fp16_overflow 0
		.amdhsa_workgroup_processor_mode 1
		.amdhsa_memory_ordered 1
		.amdhsa_forward_progress 0
		.amdhsa_shared_vgpr_count 0
		.amdhsa_exception_fp_ieee_invalid_op 0
		.amdhsa_exception_fp_denorm_src 0
		.amdhsa_exception_fp_ieee_div_zero 0
		.amdhsa_exception_fp_ieee_overflow 0
		.amdhsa_exception_fp_ieee_underflow 0
		.amdhsa_exception_fp_ieee_inexact 0
		.amdhsa_exception_int_div_zero 0
	.end_amdhsa_kernel
	.section	.text._Z6kernelI14exclusive_scanaLj63ELj100EEvPKT0_PS1_S1_,"axG",@progbits,_Z6kernelI14exclusive_scanaLj63ELj100EEvPKT0_PS1_S1_,comdat
.Lfunc_end81:
	.size	_Z6kernelI14exclusive_scanaLj63ELj100EEvPKT0_PS1_S1_, .Lfunc_end81-_Z6kernelI14exclusive_scanaLj63ELj100EEvPKT0_PS1_S1_
                                        ; -- End function
	.section	.AMDGPU.csdata,"",@progbits
; Kernel info:
; codeLenInByte = 76
; NumSgprs: 16
; NumVgprs: 3
; ScratchSize: 0
; MemoryBound: 0
; FloatMode: 240
; IeeeMode: 1
; LDSByteSize: 0 bytes/workgroup (compile time only)
; SGPRBlocks: 1
; VGPRBlocks: 0
; NumSGPRsForWavesPerEU: 16
; NumVGPRsForWavesPerEU: 3
; Occupancy: 16
; WaveLimiterHint : 0
; COMPUTE_PGM_RSRC2:SCRATCH_EN: 0
; COMPUTE_PGM_RSRC2:USER_SGPR: 15
; COMPUTE_PGM_RSRC2:TRAP_HANDLER: 0
; COMPUTE_PGM_RSRC2:TGID_X_EN: 1
; COMPUTE_PGM_RSRC2:TGID_Y_EN: 0
; COMPUTE_PGM_RSRC2:TGID_Z_EN: 0
; COMPUTE_PGM_RSRC2:TIDIG_COMP_CNT: 0
	.section	.text._Z6kernelI14exclusive_scanaLj31ELj100EEvPKT0_PS1_S1_,"axG",@progbits,_Z6kernelI14exclusive_scanaLj31ELj100EEvPKT0_PS1_S1_,comdat
	.protected	_Z6kernelI14exclusive_scanaLj31ELj100EEvPKT0_PS1_S1_ ; -- Begin function _Z6kernelI14exclusive_scanaLj31ELj100EEvPKT0_PS1_S1_
	.globl	_Z6kernelI14exclusive_scanaLj31ELj100EEvPKT0_PS1_S1_
	.p2align	8
	.type	_Z6kernelI14exclusive_scanaLj31ELj100EEvPKT0_PS1_S1_,@function
_Z6kernelI14exclusive_scanaLj31ELj100EEvPKT0_PS1_S1_: ; @_Z6kernelI14exclusive_scanaLj31ELj100EEvPKT0_PS1_S1_
; %bb.0:
	s_clause 0x2
	s_load_b32 s2, s[0:1], 0x24
	s_load_b128 s[4:7], s[0:1], 0x0
	s_load_b32 s8, s[0:1], 0x10
	s_waitcnt lgkmcnt(0)
	s_and_b32 s2, s2, 0xffff
	s_delay_alu instid0(SALU_CYCLE_1) | instskip(SKIP_1) | instid1(VALU_DEP_1)
	v_mad_u64_u32 v[1:2], null, s15, s2, v[0:1]
	v_mbcnt_lo_u32_b32 v2, -1, 0
	v_mul_hi_u32 v3, 0x8421085, v2
	global_load_u8 v0, v1, s[4:5]
	s_movk_i32 s4, 0x64
	v_mul_u32_u24_e32 v3, 31, v3
	s_delay_alu instid0(VALU_DEP_1) | instskip(NEXT) | instid1(VALU_DEP_1)
	v_sub_nc_u32_e32 v2, v2, v3
	v_cmp_ne_u32_e32 vcc_lo, 0, v2
	v_cmp_lt_u32_e64 s0, 1, v2
	v_cmp_lt_u32_e64 s1, 3, v2
	;; [unrolled: 1-line block ×4, first 2 shown]
	v_add_nc_u32_e32 v3, -1, v2
	v_add_nc_u32_e32 v4, -2, v2
	;; [unrolled: 1-line block ×5, first 2 shown]
	s_branch .LBB82_2
.LBB82_1:                               ;   in Loop: Header=BB82_2 Depth=1
	s_or_b32 exec_lo, exec_lo, s5
	s_add_i32 s4, s4, -1
	s_delay_alu instid0(SALU_CYCLE_1)
	s_cmp_lg_u32 s4, 0
	s_cbranch_scc0 .LBB82_24
.LBB82_2:                               ; =>This Inner Loop Header: Depth=1
	s_waitcnt vmcnt(0)
	ds_store_b8 v2, v0
	; wave barrier
	s_and_saveexec_b32 s5, vcc_lo
	s_cbranch_execz .LBB82_4
; %bb.3:                                ;   in Loop: Header=BB82_2 Depth=1
	ds_load_u8 v8, v3
	s_waitcnt lgkmcnt(0)
	v_add_nc_u16 v0, v8, v0
.LBB82_4:                               ;   in Loop: Header=BB82_2 Depth=1
	s_or_b32 exec_lo, exec_lo, s5
	; wave barrier
	s_and_saveexec_b32 s5, vcc_lo
	s_cbranch_execz .LBB82_6
; %bb.5:                                ;   in Loop: Header=BB82_2 Depth=1
	ds_store_b8 v2, v0
.LBB82_6:                               ;   in Loop: Header=BB82_2 Depth=1
	s_or_b32 exec_lo, exec_lo, s5
	; wave barrier
	s_and_saveexec_b32 s5, s0
	s_cbranch_execz .LBB82_8
; %bb.7:                                ;   in Loop: Header=BB82_2 Depth=1
	ds_load_u8 v8, v4
	s_waitcnt lgkmcnt(0)
	v_add_nc_u16 v0, v8, v0
.LBB82_8:                               ;   in Loop: Header=BB82_2 Depth=1
	s_or_b32 exec_lo, exec_lo, s5
	; wave barrier
	s_and_saveexec_b32 s5, s0
	s_cbranch_execz .LBB82_10
; %bb.9:                                ;   in Loop: Header=BB82_2 Depth=1
	ds_store_b8 v2, v0
.LBB82_10:                              ;   in Loop: Header=BB82_2 Depth=1
	s_or_b32 exec_lo, exec_lo, s5
	; wave barrier
	s_and_saveexec_b32 s5, s1
	s_cbranch_execz .LBB82_12
; %bb.11:                               ;   in Loop: Header=BB82_2 Depth=1
	ds_load_u8 v8, v5
	s_waitcnt lgkmcnt(0)
	v_add_nc_u16 v0, v8, v0
.LBB82_12:                              ;   in Loop: Header=BB82_2 Depth=1
	s_or_b32 exec_lo, exec_lo, s5
	; wave barrier
	s_and_saveexec_b32 s5, s1
	s_cbranch_execz .LBB82_14
; %bb.13:                               ;   in Loop: Header=BB82_2 Depth=1
	ds_store_b8 v2, v0
.LBB82_14:                              ;   in Loop: Header=BB82_2 Depth=1
	s_or_b32 exec_lo, exec_lo, s5
	; wave barrier
	s_and_saveexec_b32 s5, s2
	s_cbranch_execz .LBB82_16
; %bb.15:                               ;   in Loop: Header=BB82_2 Depth=1
	ds_load_u8 v8, v6
	s_waitcnt lgkmcnt(0)
	v_add_nc_u16 v0, v8, v0
.LBB82_16:                              ;   in Loop: Header=BB82_2 Depth=1
	s_or_b32 exec_lo, exec_lo, s5
	; wave barrier
	s_and_saveexec_b32 s5, s2
	s_cbranch_execz .LBB82_18
; %bb.17:                               ;   in Loop: Header=BB82_2 Depth=1
	ds_store_b8 v2, v0
.LBB82_18:                              ;   in Loop: Header=BB82_2 Depth=1
	s_or_b32 exec_lo, exec_lo, s5
	; wave barrier
	s_and_saveexec_b32 s5, s3
	s_cbranch_execz .LBB82_20
; %bb.19:                               ;   in Loop: Header=BB82_2 Depth=1
	ds_load_u8 v8, v7
	s_waitcnt lgkmcnt(0)
	v_add_nc_u16 v0, v8, v0
.LBB82_20:                              ;   in Loop: Header=BB82_2 Depth=1
	s_or_b32 exec_lo, exec_lo, s5
	; wave barrier
	s_and_saveexec_b32 s5, s3
	s_cbranch_execz .LBB82_22
; %bb.21:                               ;   in Loop: Header=BB82_2 Depth=1
	ds_store_b8 v2, v0
.LBB82_22:                              ;   in Loop: Header=BB82_2 Depth=1
	s_or_b32 exec_lo, exec_lo, s5
	v_mov_b32_e32 v0, s8
	; wave barrier
	s_and_saveexec_b32 s5, vcc_lo
	s_cbranch_execz .LBB82_1
; %bb.23:                               ;   in Loop: Header=BB82_2 Depth=1
	ds_load_u8 v0, v3
	s_waitcnt lgkmcnt(0)
	v_add_nc_u16 v0, v0, s8
	s_branch .LBB82_1
.LBB82_24:
	v_add_co_u32 v1, s0, s6, v1
	s_delay_alu instid0(VALU_DEP_1)
	v_add_co_ci_u32_e64 v2, null, s7, 0, s0
	global_store_b8 v[1:2], v0, off
	s_nop 0
	s_sendmsg sendmsg(MSG_DEALLOC_VGPRS)
	s_endpgm
	.section	.rodata,"a",@progbits
	.p2align	6, 0x0
	.amdhsa_kernel _Z6kernelI14exclusive_scanaLj31ELj100EEvPKT0_PS1_S1_
		.amdhsa_group_segment_fixed_size 31
		.amdhsa_private_segment_fixed_size 0
		.amdhsa_kernarg_size 280
		.amdhsa_user_sgpr_count 15
		.amdhsa_user_sgpr_dispatch_ptr 0
		.amdhsa_user_sgpr_queue_ptr 0
		.amdhsa_user_sgpr_kernarg_segment_ptr 1
		.amdhsa_user_sgpr_dispatch_id 0
		.amdhsa_user_sgpr_private_segment_size 0
		.amdhsa_wavefront_size32 1
		.amdhsa_uses_dynamic_stack 0
		.amdhsa_enable_private_segment 0
		.amdhsa_system_sgpr_workgroup_id_x 1
		.amdhsa_system_sgpr_workgroup_id_y 0
		.amdhsa_system_sgpr_workgroup_id_z 0
		.amdhsa_system_sgpr_workgroup_info 0
		.amdhsa_system_vgpr_workitem_id 0
		.amdhsa_next_free_vgpr 9
		.amdhsa_next_free_sgpr 16
		.amdhsa_reserve_vcc 1
		.amdhsa_float_round_mode_32 0
		.amdhsa_float_round_mode_16_64 0
		.amdhsa_float_denorm_mode_32 3
		.amdhsa_float_denorm_mode_16_64 3
		.amdhsa_dx10_clamp 1
		.amdhsa_ieee_mode 1
		.amdhsa_fp16_overflow 0
		.amdhsa_workgroup_processor_mode 1
		.amdhsa_memory_ordered 1
		.amdhsa_forward_progress 0
		.amdhsa_shared_vgpr_count 0
		.amdhsa_exception_fp_ieee_invalid_op 0
		.amdhsa_exception_fp_denorm_src 0
		.amdhsa_exception_fp_ieee_div_zero 0
		.amdhsa_exception_fp_ieee_overflow 0
		.amdhsa_exception_fp_ieee_underflow 0
		.amdhsa_exception_fp_ieee_inexact 0
		.amdhsa_exception_int_div_zero 0
	.end_amdhsa_kernel
	.section	.text._Z6kernelI14exclusive_scanaLj31ELj100EEvPKT0_PS1_S1_,"axG",@progbits,_Z6kernelI14exclusive_scanaLj31ELj100EEvPKT0_PS1_S1_,comdat
.Lfunc_end82:
	.size	_Z6kernelI14exclusive_scanaLj31ELj100EEvPKT0_PS1_S1_, .Lfunc_end82-_Z6kernelI14exclusive_scanaLj31ELj100EEvPKT0_PS1_S1_
                                        ; -- End function
	.section	.AMDGPU.csdata,"",@progbits
; Kernel info:
; codeLenInByte = 524
; NumSgprs: 18
; NumVgprs: 9
; ScratchSize: 0
; MemoryBound: 0
; FloatMode: 240
; IeeeMode: 1
; LDSByteSize: 31 bytes/workgroup (compile time only)
; SGPRBlocks: 2
; VGPRBlocks: 1
; NumSGPRsForWavesPerEU: 18
; NumVGPRsForWavesPerEU: 9
; Occupancy: 16
; WaveLimiterHint : 0
; COMPUTE_PGM_RSRC2:SCRATCH_EN: 0
; COMPUTE_PGM_RSRC2:USER_SGPR: 15
; COMPUTE_PGM_RSRC2:TRAP_HANDLER: 0
; COMPUTE_PGM_RSRC2:TGID_X_EN: 1
; COMPUTE_PGM_RSRC2:TGID_Y_EN: 0
; COMPUTE_PGM_RSRC2:TGID_Z_EN: 0
; COMPUTE_PGM_RSRC2:TIDIG_COMP_CNT: 0
	.section	.text._Z6kernelI14exclusive_scanaLj15ELj100EEvPKT0_PS1_S1_,"axG",@progbits,_Z6kernelI14exclusive_scanaLj15ELj100EEvPKT0_PS1_S1_,comdat
	.protected	_Z6kernelI14exclusive_scanaLj15ELj100EEvPKT0_PS1_S1_ ; -- Begin function _Z6kernelI14exclusive_scanaLj15ELj100EEvPKT0_PS1_S1_
	.globl	_Z6kernelI14exclusive_scanaLj15ELj100EEvPKT0_PS1_S1_
	.p2align	8
	.type	_Z6kernelI14exclusive_scanaLj15ELj100EEvPKT0_PS1_S1_,@function
_Z6kernelI14exclusive_scanaLj15ELj100EEvPKT0_PS1_S1_: ; @_Z6kernelI14exclusive_scanaLj15ELj100EEvPKT0_PS1_S1_
; %bb.0:
	s_clause 0x2
	s_load_b32 s2, s[0:1], 0x24
	s_load_b128 s[4:7], s[0:1], 0x0
	s_load_b32 s3, s[0:1], 0x10
	s_waitcnt lgkmcnt(0)
	s_and_b32 s2, s2, 0xffff
	s_delay_alu instid0(SALU_CYCLE_1) | instskip(SKIP_1) | instid1(VALU_DEP_1)
	v_mad_u64_u32 v[1:2], null, s15, s2, v[0:1]
	v_mbcnt_lo_u32_b32 v2, -1, 0
	v_mul_hi_u32 v3, 0x11111112, v2
	global_load_u8 v0, v1, s[4:5]
	s_movk_i32 s4, 0x64
	v_mul_u32_u24_e32 v3, 15, v3
	s_delay_alu instid0(VALU_DEP_1) | instskip(NEXT) | instid1(VALU_DEP_1)
	v_sub_nc_u32_e32 v2, v2, v3
	v_cmp_ne_u32_e32 vcc_lo, 0, v2
	v_cmp_lt_u32_e64 s0, 1, v2
	v_cmp_lt_u32_e64 s1, 3, v2
	;; [unrolled: 1-line block ×3, first 2 shown]
	v_add_nc_u32_e32 v3, -1, v2
	v_add_nc_u32_e32 v4, -2, v2
	v_add_nc_u32_e32 v5, -4, v2
	v_add_nc_u32_e32 v6, -8, v2
	s_branch .LBB83_2
.LBB83_1:                               ;   in Loop: Header=BB83_2 Depth=1
	s_or_b32 exec_lo, exec_lo, s5
	s_add_i32 s4, s4, -1
	s_delay_alu instid0(SALU_CYCLE_1)
	s_cmp_lg_u32 s4, 0
	s_cbranch_scc0 .LBB83_20
.LBB83_2:                               ; =>This Inner Loop Header: Depth=1
	s_waitcnt vmcnt(0)
	ds_store_b8 v2, v0
	; wave barrier
	s_and_saveexec_b32 s5, vcc_lo
	s_cbranch_execz .LBB83_4
; %bb.3:                                ;   in Loop: Header=BB83_2 Depth=1
	ds_load_u8 v7, v3
	s_waitcnt lgkmcnt(0)
	v_add_nc_u16 v0, v7, v0
.LBB83_4:                               ;   in Loop: Header=BB83_2 Depth=1
	s_or_b32 exec_lo, exec_lo, s5
	; wave barrier
	s_and_saveexec_b32 s5, vcc_lo
	s_cbranch_execz .LBB83_6
; %bb.5:                                ;   in Loop: Header=BB83_2 Depth=1
	ds_store_b8 v2, v0
.LBB83_6:                               ;   in Loop: Header=BB83_2 Depth=1
	s_or_b32 exec_lo, exec_lo, s5
	; wave barrier
	s_and_saveexec_b32 s5, s0
	s_cbranch_execz .LBB83_8
; %bb.7:                                ;   in Loop: Header=BB83_2 Depth=1
	ds_load_u8 v7, v4
	s_waitcnt lgkmcnt(0)
	v_add_nc_u16 v0, v7, v0
.LBB83_8:                               ;   in Loop: Header=BB83_2 Depth=1
	s_or_b32 exec_lo, exec_lo, s5
	; wave barrier
	s_and_saveexec_b32 s5, s0
	s_cbranch_execz .LBB83_10
; %bb.9:                                ;   in Loop: Header=BB83_2 Depth=1
	ds_store_b8 v2, v0
.LBB83_10:                              ;   in Loop: Header=BB83_2 Depth=1
	s_or_b32 exec_lo, exec_lo, s5
	; wave barrier
	s_and_saveexec_b32 s5, s1
	s_cbranch_execz .LBB83_12
; %bb.11:                               ;   in Loop: Header=BB83_2 Depth=1
	ds_load_u8 v7, v5
	s_waitcnt lgkmcnt(0)
	v_add_nc_u16 v0, v7, v0
.LBB83_12:                              ;   in Loop: Header=BB83_2 Depth=1
	s_or_b32 exec_lo, exec_lo, s5
	; wave barrier
	s_and_saveexec_b32 s5, s1
	s_cbranch_execz .LBB83_14
; %bb.13:                               ;   in Loop: Header=BB83_2 Depth=1
	ds_store_b8 v2, v0
.LBB83_14:                              ;   in Loop: Header=BB83_2 Depth=1
	s_or_b32 exec_lo, exec_lo, s5
	; wave barrier
	s_and_saveexec_b32 s5, s2
	s_cbranch_execz .LBB83_16
; %bb.15:                               ;   in Loop: Header=BB83_2 Depth=1
	ds_load_u8 v7, v6
	s_waitcnt lgkmcnt(0)
	v_add_nc_u16 v0, v7, v0
.LBB83_16:                              ;   in Loop: Header=BB83_2 Depth=1
	s_or_b32 exec_lo, exec_lo, s5
	; wave barrier
	s_and_saveexec_b32 s5, s2
	s_cbranch_execz .LBB83_18
; %bb.17:                               ;   in Loop: Header=BB83_2 Depth=1
	ds_store_b8 v2, v0
.LBB83_18:                              ;   in Loop: Header=BB83_2 Depth=1
	s_or_b32 exec_lo, exec_lo, s5
	v_mov_b32_e32 v0, s3
	; wave barrier
	s_and_saveexec_b32 s5, vcc_lo
	s_cbranch_execz .LBB83_1
; %bb.19:                               ;   in Loop: Header=BB83_2 Depth=1
	ds_load_u8 v0, v3
	s_waitcnt lgkmcnt(0)
	v_add_nc_u16 v0, v0, s3
	s_branch .LBB83_1
.LBB83_20:
	v_add_co_u32 v1, s0, s6, v1
	s_delay_alu instid0(VALU_DEP_1)
	v_add_co_ci_u32_e64 v2, null, s7, 0, s0
	global_store_b8 v[1:2], v0, off
	s_nop 0
	s_sendmsg sendmsg(MSG_DEALLOC_VGPRS)
	s_endpgm
	.section	.rodata,"a",@progbits
	.p2align	6, 0x0
	.amdhsa_kernel _Z6kernelI14exclusive_scanaLj15ELj100EEvPKT0_PS1_S1_
		.amdhsa_group_segment_fixed_size 15
		.amdhsa_private_segment_fixed_size 0
		.amdhsa_kernarg_size 280
		.amdhsa_user_sgpr_count 15
		.amdhsa_user_sgpr_dispatch_ptr 0
		.amdhsa_user_sgpr_queue_ptr 0
		.amdhsa_user_sgpr_kernarg_segment_ptr 1
		.amdhsa_user_sgpr_dispatch_id 0
		.amdhsa_user_sgpr_private_segment_size 0
		.amdhsa_wavefront_size32 1
		.amdhsa_uses_dynamic_stack 0
		.amdhsa_enable_private_segment 0
		.amdhsa_system_sgpr_workgroup_id_x 1
		.amdhsa_system_sgpr_workgroup_id_y 0
		.amdhsa_system_sgpr_workgroup_id_z 0
		.amdhsa_system_sgpr_workgroup_info 0
		.amdhsa_system_vgpr_workitem_id 0
		.amdhsa_next_free_vgpr 8
		.amdhsa_next_free_sgpr 16
		.amdhsa_reserve_vcc 1
		.amdhsa_float_round_mode_32 0
		.amdhsa_float_round_mode_16_64 0
		.amdhsa_float_denorm_mode_32 3
		.amdhsa_float_denorm_mode_16_64 3
		.amdhsa_dx10_clamp 1
		.amdhsa_ieee_mode 1
		.amdhsa_fp16_overflow 0
		.amdhsa_workgroup_processor_mode 1
		.amdhsa_memory_ordered 1
		.amdhsa_forward_progress 0
		.amdhsa_shared_vgpr_count 0
		.amdhsa_exception_fp_ieee_invalid_op 0
		.amdhsa_exception_fp_denorm_src 0
		.amdhsa_exception_fp_ieee_div_zero 0
		.amdhsa_exception_fp_ieee_overflow 0
		.amdhsa_exception_fp_ieee_underflow 0
		.amdhsa_exception_fp_ieee_inexact 0
		.amdhsa_exception_int_div_zero 0
	.end_amdhsa_kernel
	.section	.text._Z6kernelI14exclusive_scanaLj15ELj100EEvPKT0_PS1_S1_,"axG",@progbits,_Z6kernelI14exclusive_scanaLj15ELj100EEvPKT0_PS1_S1_,comdat
.Lfunc_end83:
	.size	_Z6kernelI14exclusive_scanaLj15ELj100EEvPKT0_PS1_S1_, .Lfunc_end83-_Z6kernelI14exclusive_scanaLj15ELj100EEvPKT0_PS1_S1_
                                        ; -- End function
	.section	.AMDGPU.csdata,"",@progbits
; Kernel info:
; codeLenInByte = 460
; NumSgprs: 18
; NumVgprs: 8
; ScratchSize: 0
; MemoryBound: 0
; FloatMode: 240
; IeeeMode: 1
; LDSByteSize: 15 bytes/workgroup (compile time only)
; SGPRBlocks: 2
; VGPRBlocks: 0
; NumSGPRsForWavesPerEU: 18
; NumVGPRsForWavesPerEU: 8
; Occupancy: 16
; WaveLimiterHint : 0
; COMPUTE_PGM_RSRC2:SCRATCH_EN: 0
; COMPUTE_PGM_RSRC2:USER_SGPR: 15
; COMPUTE_PGM_RSRC2:TRAP_HANDLER: 0
; COMPUTE_PGM_RSRC2:TGID_X_EN: 1
; COMPUTE_PGM_RSRC2:TGID_Y_EN: 0
; COMPUTE_PGM_RSRC2:TGID_Z_EN: 0
; COMPUTE_PGM_RSRC2:TIDIG_COMP_CNT: 0
	.section	.text._Z6kernelI14exclusive_scanhLj64ELj100EEvPKT0_PS1_S1_,"axG",@progbits,_Z6kernelI14exclusive_scanhLj64ELj100EEvPKT0_PS1_S1_,comdat
	.protected	_Z6kernelI14exclusive_scanhLj64ELj100EEvPKT0_PS1_S1_ ; -- Begin function _Z6kernelI14exclusive_scanhLj64ELj100EEvPKT0_PS1_S1_
	.globl	_Z6kernelI14exclusive_scanhLj64ELj100EEvPKT0_PS1_S1_
	.p2align	8
	.type	_Z6kernelI14exclusive_scanhLj64ELj100EEvPKT0_PS1_S1_,@function
_Z6kernelI14exclusive_scanhLj64ELj100EEvPKT0_PS1_S1_: ; @_Z6kernelI14exclusive_scanhLj64ELj100EEvPKT0_PS1_S1_
; %bb.0:
	s_clause 0x1
	s_load_b32 s4, s[0:1], 0x24
	s_load_b128 s[0:3], s[0:1], 0x0
	s_waitcnt lgkmcnt(0)
	s_and_b32 s4, s4, 0xffff
	s_delay_alu instid0(SALU_CYCLE_1)
	v_mad_u64_u32 v[1:2], null, s15, s4, v[0:1]
	global_load_u8 v0, v1, s[0:1]
	s_waitcnt vmcnt(0)
	global_store_b8 v1, v0, s[2:3]
	s_nop 0
	s_sendmsg sendmsg(MSG_DEALLOC_VGPRS)
	s_endpgm
	.section	.rodata,"a",@progbits
	.p2align	6, 0x0
	.amdhsa_kernel _Z6kernelI14exclusive_scanhLj64ELj100EEvPKT0_PS1_S1_
		.amdhsa_group_segment_fixed_size 0
		.amdhsa_private_segment_fixed_size 0
		.amdhsa_kernarg_size 280
		.amdhsa_user_sgpr_count 15
		.amdhsa_user_sgpr_dispatch_ptr 0
		.amdhsa_user_sgpr_queue_ptr 0
		.amdhsa_user_sgpr_kernarg_segment_ptr 1
		.amdhsa_user_sgpr_dispatch_id 0
		.amdhsa_user_sgpr_private_segment_size 0
		.amdhsa_wavefront_size32 1
		.amdhsa_uses_dynamic_stack 0
		.amdhsa_enable_private_segment 0
		.amdhsa_system_sgpr_workgroup_id_x 1
		.amdhsa_system_sgpr_workgroup_id_y 0
		.amdhsa_system_sgpr_workgroup_id_z 0
		.amdhsa_system_sgpr_workgroup_info 0
		.amdhsa_system_vgpr_workitem_id 0
		.amdhsa_next_free_vgpr 3
		.amdhsa_next_free_sgpr 16
		.amdhsa_reserve_vcc 0
		.amdhsa_float_round_mode_32 0
		.amdhsa_float_round_mode_16_64 0
		.amdhsa_float_denorm_mode_32 3
		.amdhsa_float_denorm_mode_16_64 3
		.amdhsa_dx10_clamp 1
		.amdhsa_ieee_mode 1
		.amdhsa_fp16_overflow 0
		.amdhsa_workgroup_processor_mode 1
		.amdhsa_memory_ordered 1
		.amdhsa_forward_progress 0
		.amdhsa_shared_vgpr_count 0
		.amdhsa_exception_fp_ieee_invalid_op 0
		.amdhsa_exception_fp_denorm_src 0
		.amdhsa_exception_fp_ieee_div_zero 0
		.amdhsa_exception_fp_ieee_overflow 0
		.amdhsa_exception_fp_ieee_underflow 0
		.amdhsa_exception_fp_ieee_inexact 0
		.amdhsa_exception_int_div_zero 0
	.end_amdhsa_kernel
	.section	.text._Z6kernelI14exclusive_scanhLj64ELj100EEvPKT0_PS1_S1_,"axG",@progbits,_Z6kernelI14exclusive_scanhLj64ELj100EEvPKT0_PS1_S1_,comdat
.Lfunc_end84:
	.size	_Z6kernelI14exclusive_scanhLj64ELj100EEvPKT0_PS1_S1_, .Lfunc_end84-_Z6kernelI14exclusive_scanhLj64ELj100EEvPKT0_PS1_S1_
                                        ; -- End function
	.section	.AMDGPU.csdata,"",@progbits
; Kernel info:
; codeLenInByte = 76
; NumSgprs: 16
; NumVgprs: 3
; ScratchSize: 0
; MemoryBound: 0
; FloatMode: 240
; IeeeMode: 1
; LDSByteSize: 0 bytes/workgroup (compile time only)
; SGPRBlocks: 1
; VGPRBlocks: 0
; NumSGPRsForWavesPerEU: 16
; NumVGPRsForWavesPerEU: 3
; Occupancy: 16
; WaveLimiterHint : 0
; COMPUTE_PGM_RSRC2:SCRATCH_EN: 0
; COMPUTE_PGM_RSRC2:USER_SGPR: 15
; COMPUTE_PGM_RSRC2:TRAP_HANDLER: 0
; COMPUTE_PGM_RSRC2:TGID_X_EN: 1
; COMPUTE_PGM_RSRC2:TGID_Y_EN: 0
; COMPUTE_PGM_RSRC2:TGID_Z_EN: 0
; COMPUTE_PGM_RSRC2:TIDIG_COMP_CNT: 0
	.section	.text._Z6kernelI14exclusive_scanhLj32ELj100EEvPKT0_PS1_S1_,"axG",@progbits,_Z6kernelI14exclusive_scanhLj32ELj100EEvPKT0_PS1_S1_,comdat
	.protected	_Z6kernelI14exclusive_scanhLj32ELj100EEvPKT0_PS1_S1_ ; -- Begin function _Z6kernelI14exclusive_scanhLj32ELj100EEvPKT0_PS1_S1_
	.globl	_Z6kernelI14exclusive_scanhLj32ELj100EEvPKT0_PS1_S1_
	.p2align	8
	.type	_Z6kernelI14exclusive_scanhLj32ELj100EEvPKT0_PS1_S1_,@function
_Z6kernelI14exclusive_scanhLj32ELj100EEvPKT0_PS1_S1_: ; @_Z6kernelI14exclusive_scanhLj32ELj100EEvPKT0_PS1_S1_
; %bb.0:
	s_clause 0x1
	s_load_b32 s2, s[0:1], 0x24
	s_load_b128 s[4:7], s[0:1], 0x0
	v_mbcnt_lo_u32_b32 v3, -1, 0
	s_load_b32 s8, s[0:1], 0x10
	s_delay_alu instid0(VALU_DEP_1) | instskip(SKIP_1) | instid1(VALU_DEP_2)
	v_add_nc_u32_e32 v4, -1, v3
	v_and_b32_e32 v5, 16, v3
	v_cmp_gt_i32_e64 s0, 0, v4
	s_delay_alu instid0(VALU_DEP_2) | instskip(NEXT) | instid1(VALU_DEP_2)
	v_cmp_eq_u32_e64 s3, 0, v5
	v_cndmask_b32_e64 v4, v4, v3, s0
	s_waitcnt lgkmcnt(0)
	s_and_b32 s2, s2, 0xffff
	s_delay_alu instid0(SALU_CYCLE_1) | instskip(SKIP_1) | instid1(VALU_DEP_1)
	v_mad_u64_u32 v[1:2], null, s15, s2, v[0:1]
	v_and_b32_e32 v2, 15, v3
	v_cmp_eq_u32_e32 vcc_lo, 0, v2
	global_load_u8 v0, v1, s[4:5]
	v_cmp_lt_u32_e64 s0, 1, v2
	v_cmp_lt_u32_e64 s1, 3, v2
	;; [unrolled: 1-line block ×3, first 2 shown]
	v_lshlrev_b32_e32 v2, 2, v4
	v_cmp_eq_u32_e64 s4, 0, v3
	s_movk_i32 s5, 0x64
.LBB85_1:                               ; =>This Inner Loop Header: Depth=1
	s_waitcnt vmcnt(0)
	s_delay_alu instid0(VALU_DEP_1) | instskip(SKIP_1) | instid1(SALU_CYCLE_1)
	v_and_b32_e32 v3, 0xff, v0
	s_add_i32 s5, s5, -1
	s_cmp_lg_u32 s5, 0
	s_delay_alu instid0(VALU_DEP_1) | instskip(NEXT) | instid1(VALU_DEP_1)
	v_mov_b32_dpp v3, v3 row_shr:1 row_mask:0xf bank_mask:0xf
	v_cndmask_b32_e64 v3, v3, 0, vcc_lo
	s_delay_alu instid0(VALU_DEP_1) | instskip(NEXT) | instid1(VALU_DEP_1)
	v_add_nc_u16 v0, v3, v0
	v_and_b32_e32 v3, 0xff, v0
	s_delay_alu instid0(VALU_DEP_1) | instskip(NEXT) | instid1(VALU_DEP_1)
	v_mov_b32_dpp v3, v3 row_shr:2 row_mask:0xf bank_mask:0xf
	v_cndmask_b32_e64 v3, 0, v3, s0
	s_delay_alu instid0(VALU_DEP_1) | instskip(NEXT) | instid1(VALU_DEP_1)
	v_add_nc_u16 v0, v0, v3
	v_and_b32_e32 v3, 0xff, v0
	s_delay_alu instid0(VALU_DEP_1) | instskip(NEXT) | instid1(VALU_DEP_1)
	v_mov_b32_dpp v3, v3 row_shr:4 row_mask:0xf bank_mask:0xf
	v_cndmask_b32_e64 v3, 0, v3, s1
	;; [unrolled: 6-line block ×3, first 2 shown]
	s_delay_alu instid0(VALU_DEP_1) | instskip(NEXT) | instid1(VALU_DEP_1)
	v_add_nc_u16 v0, v0, v3
	v_and_b32_e32 v3, 0xff, v0
	ds_swizzle_b32 v3, v3 offset:swizzle(BROADCAST,32,15)
	s_waitcnt lgkmcnt(0)
	v_cndmask_b32_e64 v3, v3, 0, s3
	s_delay_alu instid0(VALU_DEP_1) | instskip(NEXT) | instid1(VALU_DEP_1)
	v_add_nc_u16 v3, v3, s8
	v_add_nc_u16 v0, v3, v0
	s_delay_alu instid0(VALU_DEP_1)
	v_and_b32_e32 v0, 0xff, v0
	ds_bpermute_b32 v0, v2, v0
	s_waitcnt lgkmcnt(0)
	v_cndmask_b32_e64 v0, v0, s8, s4
	s_cbranch_scc1 .LBB85_1
; %bb.2:
	v_add_co_u32 v1, s0, s6, v1
	s_delay_alu instid0(VALU_DEP_1)
	v_add_co_ci_u32_e64 v2, null, s7, 0, s0
	global_store_b8 v[1:2], v0, off
	s_nop 0
	s_sendmsg sendmsg(MSG_DEALLOC_VGPRS)
	s_endpgm
	.section	.rodata,"a",@progbits
	.p2align	6, 0x0
	.amdhsa_kernel _Z6kernelI14exclusive_scanhLj32ELj100EEvPKT0_PS1_S1_
		.amdhsa_group_segment_fixed_size 0
		.amdhsa_private_segment_fixed_size 0
		.amdhsa_kernarg_size 280
		.amdhsa_user_sgpr_count 15
		.amdhsa_user_sgpr_dispatch_ptr 0
		.amdhsa_user_sgpr_queue_ptr 0
		.amdhsa_user_sgpr_kernarg_segment_ptr 1
		.amdhsa_user_sgpr_dispatch_id 0
		.amdhsa_user_sgpr_private_segment_size 0
		.amdhsa_wavefront_size32 1
		.amdhsa_uses_dynamic_stack 0
		.amdhsa_enable_private_segment 0
		.amdhsa_system_sgpr_workgroup_id_x 1
		.amdhsa_system_sgpr_workgroup_id_y 0
		.amdhsa_system_sgpr_workgroup_id_z 0
		.amdhsa_system_sgpr_workgroup_info 0
		.amdhsa_system_vgpr_workitem_id 0
		.amdhsa_next_free_vgpr 6
		.amdhsa_next_free_sgpr 16
		.amdhsa_reserve_vcc 1
		.amdhsa_float_round_mode_32 0
		.amdhsa_float_round_mode_16_64 0
		.amdhsa_float_denorm_mode_32 3
		.amdhsa_float_denorm_mode_16_64 3
		.amdhsa_dx10_clamp 1
		.amdhsa_ieee_mode 1
		.amdhsa_fp16_overflow 0
		.amdhsa_workgroup_processor_mode 1
		.amdhsa_memory_ordered 1
		.amdhsa_forward_progress 0
		.amdhsa_shared_vgpr_count 0
		.amdhsa_exception_fp_ieee_invalid_op 0
		.amdhsa_exception_fp_denorm_src 0
		.amdhsa_exception_fp_ieee_div_zero 0
		.amdhsa_exception_fp_ieee_overflow 0
		.amdhsa_exception_fp_ieee_underflow 0
		.amdhsa_exception_fp_ieee_inexact 0
		.amdhsa_exception_int_div_zero 0
	.end_amdhsa_kernel
	.section	.text._Z6kernelI14exclusive_scanhLj32ELj100EEvPKT0_PS1_S1_,"axG",@progbits,_Z6kernelI14exclusive_scanhLj32ELj100EEvPKT0_PS1_S1_,comdat
.Lfunc_end85:
	.size	_Z6kernelI14exclusive_scanhLj32ELj100EEvPKT0_PS1_S1_, .Lfunc_end85-_Z6kernelI14exclusive_scanhLj32ELj100EEvPKT0_PS1_S1_
                                        ; -- End function
	.section	.AMDGPU.csdata,"",@progbits
; Kernel info:
; codeLenInByte = 456
; NumSgprs: 18
; NumVgprs: 6
; ScratchSize: 0
; MemoryBound: 0
; FloatMode: 240
; IeeeMode: 1
; LDSByteSize: 0 bytes/workgroup (compile time only)
; SGPRBlocks: 2
; VGPRBlocks: 0
; NumSGPRsForWavesPerEU: 18
; NumVGPRsForWavesPerEU: 6
; Occupancy: 16
; WaveLimiterHint : 0
; COMPUTE_PGM_RSRC2:SCRATCH_EN: 0
; COMPUTE_PGM_RSRC2:USER_SGPR: 15
; COMPUTE_PGM_RSRC2:TRAP_HANDLER: 0
; COMPUTE_PGM_RSRC2:TGID_X_EN: 1
; COMPUTE_PGM_RSRC2:TGID_Y_EN: 0
; COMPUTE_PGM_RSRC2:TGID_Z_EN: 0
; COMPUTE_PGM_RSRC2:TIDIG_COMP_CNT: 0
	.section	.text._Z6kernelI14exclusive_scanhLj16ELj100EEvPKT0_PS1_S1_,"axG",@progbits,_Z6kernelI14exclusive_scanhLj16ELj100EEvPKT0_PS1_S1_,comdat
	.protected	_Z6kernelI14exclusive_scanhLj16ELj100EEvPKT0_PS1_S1_ ; -- Begin function _Z6kernelI14exclusive_scanhLj16ELj100EEvPKT0_PS1_S1_
	.globl	_Z6kernelI14exclusive_scanhLj16ELj100EEvPKT0_PS1_S1_
	.p2align	8
	.type	_Z6kernelI14exclusive_scanhLj16ELj100EEvPKT0_PS1_S1_,@function
_Z6kernelI14exclusive_scanhLj16ELj100EEvPKT0_PS1_S1_: ; @_Z6kernelI14exclusive_scanhLj16ELj100EEvPKT0_PS1_S1_
; %bb.0:
	s_clause 0x2
	s_load_b32 s2, s[0:1], 0x24
	s_load_b128 s[4:7], s[0:1], 0x0
	s_load_b32 s3, s[0:1], 0x10
	s_waitcnt lgkmcnt(0)
	s_and_b32 s2, s2, 0xffff
	s_delay_alu instid0(SALU_CYCLE_1) | instskip(SKIP_1) | instid1(VALU_DEP_1)
	v_mad_u64_u32 v[1:2], null, s15, s2, v[0:1]
	v_mbcnt_lo_u32_b32 v2, -1, 0
	v_add_nc_u32_e32 v3, -1, v2
	global_load_u8 v0, v1, s[4:5]
	v_and_b32_e32 v4, 16, v2
	v_and_b32_e32 v5, 15, v2
	s_movk_i32 s4, 0x64
	s_delay_alu instid0(VALU_DEP_2) | instskip(NEXT) | instid1(VALU_DEP_2)
	v_cmp_lt_i32_e32 vcc_lo, v3, v4
	v_cmp_lt_u32_e64 s0, 1, v5
	v_cmp_lt_u32_e64 s1, 3, v5
	;; [unrolled: 1-line block ×3, first 2 shown]
	v_cndmask_b32_e32 v2, v3, v2, vcc_lo
	v_cmp_eq_u32_e32 vcc_lo, 0, v5
	s_delay_alu instid0(VALU_DEP_2)
	v_lshlrev_b32_e32 v2, 2, v2
	s_set_inst_prefetch_distance 0x1
	.p2align	6
.LBB86_1:                               ; =>This Inner Loop Header: Depth=1
	s_waitcnt vmcnt(0)
	s_delay_alu instid0(VALU_DEP_1) | instskip(SKIP_1) | instid1(SALU_CYCLE_1)
	v_and_b32_e32 v3, 0xff, v0
	s_add_i32 s4, s4, -1
	s_cmp_lg_u32 s4, 0
	s_delay_alu instid0(VALU_DEP_1) | instskip(NEXT) | instid1(VALU_DEP_1)
	v_mov_b32_dpp v3, v3 row_shr:1 row_mask:0xf bank_mask:0xf
	v_cndmask_b32_e64 v3, v3, 0, vcc_lo
	s_delay_alu instid0(VALU_DEP_1) | instskip(NEXT) | instid1(VALU_DEP_1)
	v_add_nc_u16 v0, v3, v0
	v_and_b32_e32 v3, 0xff, v0
	s_delay_alu instid0(VALU_DEP_1) | instskip(NEXT) | instid1(VALU_DEP_1)
	v_mov_b32_dpp v3, v3 row_shr:2 row_mask:0xf bank_mask:0xf
	v_cndmask_b32_e64 v3, 0, v3, s0
	s_delay_alu instid0(VALU_DEP_1) | instskip(NEXT) | instid1(VALU_DEP_1)
	v_add_nc_u16 v0, v0, v3
	v_and_b32_e32 v3, 0xff, v0
	s_delay_alu instid0(VALU_DEP_1) | instskip(NEXT) | instid1(VALU_DEP_1)
	v_mov_b32_dpp v3, v3 row_shr:4 row_mask:0xf bank_mask:0xf
	v_cndmask_b32_e64 v3, 0, v3, s1
	;; [unrolled: 6-line block ×3, first 2 shown]
	s_delay_alu instid0(VALU_DEP_1) | instskip(NEXT) | instid1(VALU_DEP_1)
	v_add_nc_u16 v3, v3, s3
	v_add_nc_u16 v0, v3, v0
	s_delay_alu instid0(VALU_DEP_1)
	v_and_b32_e32 v0, 0xff, v0
	ds_bpermute_b32 v0, v2, v0
	s_waitcnt lgkmcnt(0)
	v_cndmask_b32_e64 v0, v0, s3, vcc_lo
	s_cbranch_scc1 .LBB86_1
; %bb.2:
	s_set_inst_prefetch_distance 0x2
	v_add_co_u32 v1, s0, s6, v1
	s_delay_alu instid0(VALU_DEP_1)
	v_add_co_ci_u32_e64 v2, null, s7, 0, s0
	global_store_b8 v[1:2], v0, off
	s_nop 0
	s_sendmsg sendmsg(MSG_DEALLOC_VGPRS)
	s_endpgm
	.section	.rodata,"a",@progbits
	.p2align	6, 0x0
	.amdhsa_kernel _Z6kernelI14exclusive_scanhLj16ELj100EEvPKT0_PS1_S1_
		.amdhsa_group_segment_fixed_size 0
		.amdhsa_private_segment_fixed_size 0
		.amdhsa_kernarg_size 280
		.amdhsa_user_sgpr_count 15
		.amdhsa_user_sgpr_dispatch_ptr 0
		.amdhsa_user_sgpr_queue_ptr 0
		.amdhsa_user_sgpr_kernarg_segment_ptr 1
		.amdhsa_user_sgpr_dispatch_id 0
		.amdhsa_user_sgpr_private_segment_size 0
		.amdhsa_wavefront_size32 1
		.amdhsa_uses_dynamic_stack 0
		.amdhsa_enable_private_segment 0
		.amdhsa_system_sgpr_workgroup_id_x 1
		.amdhsa_system_sgpr_workgroup_id_y 0
		.amdhsa_system_sgpr_workgroup_id_z 0
		.amdhsa_system_sgpr_workgroup_info 0
		.amdhsa_system_vgpr_workitem_id 0
		.amdhsa_next_free_vgpr 6
		.amdhsa_next_free_sgpr 16
		.amdhsa_reserve_vcc 1
		.amdhsa_float_round_mode_32 0
		.amdhsa_float_round_mode_16_64 0
		.amdhsa_float_denorm_mode_32 3
		.amdhsa_float_denorm_mode_16_64 3
		.amdhsa_dx10_clamp 1
		.amdhsa_ieee_mode 1
		.amdhsa_fp16_overflow 0
		.amdhsa_workgroup_processor_mode 1
		.amdhsa_memory_ordered 1
		.amdhsa_forward_progress 0
		.amdhsa_shared_vgpr_count 0
		.amdhsa_exception_fp_ieee_invalid_op 0
		.amdhsa_exception_fp_denorm_src 0
		.amdhsa_exception_fp_ieee_div_zero 0
		.amdhsa_exception_fp_ieee_overflow 0
		.amdhsa_exception_fp_ieee_underflow 0
		.amdhsa_exception_fp_ieee_inexact 0
		.amdhsa_exception_int_div_zero 0
	.end_amdhsa_kernel
	.section	.text._Z6kernelI14exclusive_scanhLj16ELj100EEvPKT0_PS1_S1_,"axG",@progbits,_Z6kernelI14exclusive_scanhLj16ELj100EEvPKT0_PS1_S1_,comdat
.Lfunc_end86:
	.size	_Z6kernelI14exclusive_scanhLj16ELj100EEvPKT0_PS1_S1_, .Lfunc_end86-_Z6kernelI14exclusive_scanhLj16ELj100EEvPKT0_PS1_S1_
                                        ; -- End function
	.section	.AMDGPU.csdata,"",@progbits
; Kernel info:
; codeLenInByte = 400
; NumSgprs: 18
; NumVgprs: 6
; ScratchSize: 0
; MemoryBound: 0
; FloatMode: 240
; IeeeMode: 1
; LDSByteSize: 0 bytes/workgroup (compile time only)
; SGPRBlocks: 2
; VGPRBlocks: 0
; NumSGPRsForWavesPerEU: 18
; NumVGPRsForWavesPerEU: 6
; Occupancy: 16
; WaveLimiterHint : 0
; COMPUTE_PGM_RSRC2:SCRATCH_EN: 0
; COMPUTE_PGM_RSRC2:USER_SGPR: 15
; COMPUTE_PGM_RSRC2:TRAP_HANDLER: 0
; COMPUTE_PGM_RSRC2:TGID_X_EN: 1
; COMPUTE_PGM_RSRC2:TGID_Y_EN: 0
; COMPUTE_PGM_RSRC2:TGID_Z_EN: 0
; COMPUTE_PGM_RSRC2:TIDIG_COMP_CNT: 0
	.section	.text._Z6kernelI14exclusive_scanhLj63ELj100EEvPKT0_PS1_S1_,"axG",@progbits,_Z6kernelI14exclusive_scanhLj63ELj100EEvPKT0_PS1_S1_,comdat
	.protected	_Z6kernelI14exclusive_scanhLj63ELj100EEvPKT0_PS1_S1_ ; -- Begin function _Z6kernelI14exclusive_scanhLj63ELj100EEvPKT0_PS1_S1_
	.globl	_Z6kernelI14exclusive_scanhLj63ELj100EEvPKT0_PS1_S1_
	.p2align	8
	.type	_Z6kernelI14exclusive_scanhLj63ELj100EEvPKT0_PS1_S1_,@function
_Z6kernelI14exclusive_scanhLj63ELj100EEvPKT0_PS1_S1_: ; @_Z6kernelI14exclusive_scanhLj63ELj100EEvPKT0_PS1_S1_
; %bb.0:
	s_clause 0x1
	s_load_b32 s4, s[0:1], 0x24
	s_load_b128 s[0:3], s[0:1], 0x0
	s_waitcnt lgkmcnt(0)
	s_and_b32 s4, s4, 0xffff
	s_delay_alu instid0(SALU_CYCLE_1)
	v_mad_u64_u32 v[1:2], null, s15, s4, v[0:1]
	global_load_u8 v0, v1, s[0:1]
	s_waitcnt vmcnt(0)
	global_store_b8 v1, v0, s[2:3]
	s_nop 0
	s_sendmsg sendmsg(MSG_DEALLOC_VGPRS)
	s_endpgm
	.section	.rodata,"a",@progbits
	.p2align	6, 0x0
	.amdhsa_kernel _Z6kernelI14exclusive_scanhLj63ELj100EEvPKT0_PS1_S1_
		.amdhsa_group_segment_fixed_size 0
		.amdhsa_private_segment_fixed_size 0
		.amdhsa_kernarg_size 280
		.amdhsa_user_sgpr_count 15
		.amdhsa_user_sgpr_dispatch_ptr 0
		.amdhsa_user_sgpr_queue_ptr 0
		.amdhsa_user_sgpr_kernarg_segment_ptr 1
		.amdhsa_user_sgpr_dispatch_id 0
		.amdhsa_user_sgpr_private_segment_size 0
		.amdhsa_wavefront_size32 1
		.amdhsa_uses_dynamic_stack 0
		.amdhsa_enable_private_segment 0
		.amdhsa_system_sgpr_workgroup_id_x 1
		.amdhsa_system_sgpr_workgroup_id_y 0
		.amdhsa_system_sgpr_workgroup_id_z 0
		.amdhsa_system_sgpr_workgroup_info 0
		.amdhsa_system_vgpr_workitem_id 0
		.amdhsa_next_free_vgpr 3
		.amdhsa_next_free_sgpr 16
		.amdhsa_reserve_vcc 0
		.amdhsa_float_round_mode_32 0
		.amdhsa_float_round_mode_16_64 0
		.amdhsa_float_denorm_mode_32 3
		.amdhsa_float_denorm_mode_16_64 3
		.amdhsa_dx10_clamp 1
		.amdhsa_ieee_mode 1
		.amdhsa_fp16_overflow 0
		.amdhsa_workgroup_processor_mode 1
		.amdhsa_memory_ordered 1
		.amdhsa_forward_progress 0
		.amdhsa_shared_vgpr_count 0
		.amdhsa_exception_fp_ieee_invalid_op 0
		.amdhsa_exception_fp_denorm_src 0
		.amdhsa_exception_fp_ieee_div_zero 0
		.amdhsa_exception_fp_ieee_overflow 0
		.amdhsa_exception_fp_ieee_underflow 0
		.amdhsa_exception_fp_ieee_inexact 0
		.amdhsa_exception_int_div_zero 0
	.end_amdhsa_kernel
	.section	.text._Z6kernelI14exclusive_scanhLj63ELj100EEvPKT0_PS1_S1_,"axG",@progbits,_Z6kernelI14exclusive_scanhLj63ELj100EEvPKT0_PS1_S1_,comdat
.Lfunc_end87:
	.size	_Z6kernelI14exclusive_scanhLj63ELj100EEvPKT0_PS1_S1_, .Lfunc_end87-_Z6kernelI14exclusive_scanhLj63ELj100EEvPKT0_PS1_S1_
                                        ; -- End function
	.section	.AMDGPU.csdata,"",@progbits
; Kernel info:
; codeLenInByte = 76
; NumSgprs: 16
; NumVgprs: 3
; ScratchSize: 0
; MemoryBound: 0
; FloatMode: 240
; IeeeMode: 1
; LDSByteSize: 0 bytes/workgroup (compile time only)
; SGPRBlocks: 1
; VGPRBlocks: 0
; NumSGPRsForWavesPerEU: 16
; NumVGPRsForWavesPerEU: 3
; Occupancy: 16
; WaveLimiterHint : 0
; COMPUTE_PGM_RSRC2:SCRATCH_EN: 0
; COMPUTE_PGM_RSRC2:USER_SGPR: 15
; COMPUTE_PGM_RSRC2:TRAP_HANDLER: 0
; COMPUTE_PGM_RSRC2:TGID_X_EN: 1
; COMPUTE_PGM_RSRC2:TGID_Y_EN: 0
; COMPUTE_PGM_RSRC2:TGID_Z_EN: 0
; COMPUTE_PGM_RSRC2:TIDIG_COMP_CNT: 0
	.section	.text._Z6kernelI14exclusive_scanhLj31ELj100EEvPKT0_PS1_S1_,"axG",@progbits,_Z6kernelI14exclusive_scanhLj31ELj100EEvPKT0_PS1_S1_,comdat
	.protected	_Z6kernelI14exclusive_scanhLj31ELj100EEvPKT0_PS1_S1_ ; -- Begin function _Z6kernelI14exclusive_scanhLj31ELj100EEvPKT0_PS1_S1_
	.globl	_Z6kernelI14exclusive_scanhLj31ELj100EEvPKT0_PS1_S1_
	.p2align	8
	.type	_Z6kernelI14exclusive_scanhLj31ELj100EEvPKT0_PS1_S1_,@function
_Z6kernelI14exclusive_scanhLj31ELj100EEvPKT0_PS1_S1_: ; @_Z6kernelI14exclusive_scanhLj31ELj100EEvPKT0_PS1_S1_
; %bb.0:
	s_clause 0x2
	s_load_b32 s2, s[0:1], 0x24
	s_load_b128 s[4:7], s[0:1], 0x0
	s_load_b32 s8, s[0:1], 0x10
	s_waitcnt lgkmcnt(0)
	s_and_b32 s2, s2, 0xffff
	s_delay_alu instid0(SALU_CYCLE_1) | instskip(SKIP_1) | instid1(VALU_DEP_1)
	v_mad_u64_u32 v[1:2], null, s15, s2, v[0:1]
	v_mbcnt_lo_u32_b32 v2, -1, 0
	v_mul_hi_u32 v3, 0x8421085, v2
	global_load_u8 v0, v1, s[4:5]
	s_movk_i32 s4, 0x64
	v_mul_u32_u24_e32 v3, 31, v3
	s_delay_alu instid0(VALU_DEP_1) | instskip(NEXT) | instid1(VALU_DEP_1)
	v_sub_nc_u32_e32 v2, v2, v3
	v_cmp_ne_u32_e32 vcc_lo, 0, v2
	v_cmp_lt_u32_e64 s0, 1, v2
	v_cmp_lt_u32_e64 s1, 3, v2
	;; [unrolled: 1-line block ×4, first 2 shown]
	v_add_nc_u32_e32 v3, -1, v2
	v_add_nc_u32_e32 v4, -2, v2
	;; [unrolled: 1-line block ×5, first 2 shown]
	s_branch .LBB88_2
.LBB88_1:                               ;   in Loop: Header=BB88_2 Depth=1
	s_or_b32 exec_lo, exec_lo, s5
	s_add_i32 s4, s4, -1
	s_delay_alu instid0(SALU_CYCLE_1)
	s_cmp_lg_u32 s4, 0
	s_cbranch_scc0 .LBB88_24
.LBB88_2:                               ; =>This Inner Loop Header: Depth=1
	s_waitcnt vmcnt(0)
	ds_store_b8 v2, v0
	; wave barrier
	s_and_saveexec_b32 s5, vcc_lo
	s_cbranch_execz .LBB88_4
; %bb.3:                                ;   in Loop: Header=BB88_2 Depth=1
	ds_load_u8 v8, v3
	s_waitcnt lgkmcnt(0)
	v_add_nc_u16 v0, v8, v0
.LBB88_4:                               ;   in Loop: Header=BB88_2 Depth=1
	s_or_b32 exec_lo, exec_lo, s5
	; wave barrier
	s_and_saveexec_b32 s5, vcc_lo
	s_cbranch_execz .LBB88_6
; %bb.5:                                ;   in Loop: Header=BB88_2 Depth=1
	ds_store_b8 v2, v0
.LBB88_6:                               ;   in Loop: Header=BB88_2 Depth=1
	s_or_b32 exec_lo, exec_lo, s5
	; wave barrier
	s_and_saveexec_b32 s5, s0
	s_cbranch_execz .LBB88_8
; %bb.7:                                ;   in Loop: Header=BB88_2 Depth=1
	ds_load_u8 v8, v4
	s_waitcnt lgkmcnt(0)
	v_add_nc_u16 v0, v8, v0
.LBB88_8:                               ;   in Loop: Header=BB88_2 Depth=1
	s_or_b32 exec_lo, exec_lo, s5
	; wave barrier
	s_and_saveexec_b32 s5, s0
	s_cbranch_execz .LBB88_10
; %bb.9:                                ;   in Loop: Header=BB88_2 Depth=1
	ds_store_b8 v2, v0
.LBB88_10:                              ;   in Loop: Header=BB88_2 Depth=1
	s_or_b32 exec_lo, exec_lo, s5
	; wave barrier
	s_and_saveexec_b32 s5, s1
	s_cbranch_execz .LBB88_12
; %bb.11:                               ;   in Loop: Header=BB88_2 Depth=1
	ds_load_u8 v8, v5
	s_waitcnt lgkmcnt(0)
	v_add_nc_u16 v0, v8, v0
.LBB88_12:                              ;   in Loop: Header=BB88_2 Depth=1
	s_or_b32 exec_lo, exec_lo, s5
	; wave barrier
	s_and_saveexec_b32 s5, s1
	s_cbranch_execz .LBB88_14
; %bb.13:                               ;   in Loop: Header=BB88_2 Depth=1
	ds_store_b8 v2, v0
.LBB88_14:                              ;   in Loop: Header=BB88_2 Depth=1
	s_or_b32 exec_lo, exec_lo, s5
	; wave barrier
	s_and_saveexec_b32 s5, s2
	s_cbranch_execz .LBB88_16
; %bb.15:                               ;   in Loop: Header=BB88_2 Depth=1
	ds_load_u8 v8, v6
	s_waitcnt lgkmcnt(0)
	v_add_nc_u16 v0, v8, v0
.LBB88_16:                              ;   in Loop: Header=BB88_2 Depth=1
	s_or_b32 exec_lo, exec_lo, s5
	; wave barrier
	s_and_saveexec_b32 s5, s2
	s_cbranch_execz .LBB88_18
; %bb.17:                               ;   in Loop: Header=BB88_2 Depth=1
	ds_store_b8 v2, v0
.LBB88_18:                              ;   in Loop: Header=BB88_2 Depth=1
	;; [unrolled: 16-line block ×3, first 2 shown]
	s_or_b32 exec_lo, exec_lo, s5
	v_mov_b32_e32 v0, s8
	; wave barrier
	s_and_saveexec_b32 s5, vcc_lo
	s_cbranch_execz .LBB88_1
; %bb.23:                               ;   in Loop: Header=BB88_2 Depth=1
	ds_load_u8 v0, v3
	s_waitcnt lgkmcnt(0)
	v_add_nc_u16 v0, v0, s8
	s_branch .LBB88_1
.LBB88_24:
	v_add_co_u32 v1, s0, s6, v1
	s_delay_alu instid0(VALU_DEP_1)
	v_add_co_ci_u32_e64 v2, null, s7, 0, s0
	global_store_b8 v[1:2], v0, off
	s_nop 0
	s_sendmsg sendmsg(MSG_DEALLOC_VGPRS)
	s_endpgm
	.section	.rodata,"a",@progbits
	.p2align	6, 0x0
	.amdhsa_kernel _Z6kernelI14exclusive_scanhLj31ELj100EEvPKT0_PS1_S1_
		.amdhsa_group_segment_fixed_size 31
		.amdhsa_private_segment_fixed_size 0
		.amdhsa_kernarg_size 280
		.amdhsa_user_sgpr_count 15
		.amdhsa_user_sgpr_dispatch_ptr 0
		.amdhsa_user_sgpr_queue_ptr 0
		.amdhsa_user_sgpr_kernarg_segment_ptr 1
		.amdhsa_user_sgpr_dispatch_id 0
		.amdhsa_user_sgpr_private_segment_size 0
		.amdhsa_wavefront_size32 1
		.amdhsa_uses_dynamic_stack 0
		.amdhsa_enable_private_segment 0
		.amdhsa_system_sgpr_workgroup_id_x 1
		.amdhsa_system_sgpr_workgroup_id_y 0
		.amdhsa_system_sgpr_workgroup_id_z 0
		.amdhsa_system_sgpr_workgroup_info 0
		.amdhsa_system_vgpr_workitem_id 0
		.amdhsa_next_free_vgpr 9
		.amdhsa_next_free_sgpr 16
		.amdhsa_reserve_vcc 1
		.amdhsa_float_round_mode_32 0
		.amdhsa_float_round_mode_16_64 0
		.amdhsa_float_denorm_mode_32 3
		.amdhsa_float_denorm_mode_16_64 3
		.amdhsa_dx10_clamp 1
		.amdhsa_ieee_mode 1
		.amdhsa_fp16_overflow 0
		.amdhsa_workgroup_processor_mode 1
		.amdhsa_memory_ordered 1
		.amdhsa_forward_progress 0
		.amdhsa_shared_vgpr_count 0
		.amdhsa_exception_fp_ieee_invalid_op 0
		.amdhsa_exception_fp_denorm_src 0
		.amdhsa_exception_fp_ieee_div_zero 0
		.amdhsa_exception_fp_ieee_overflow 0
		.amdhsa_exception_fp_ieee_underflow 0
		.amdhsa_exception_fp_ieee_inexact 0
		.amdhsa_exception_int_div_zero 0
	.end_amdhsa_kernel
	.section	.text._Z6kernelI14exclusive_scanhLj31ELj100EEvPKT0_PS1_S1_,"axG",@progbits,_Z6kernelI14exclusive_scanhLj31ELj100EEvPKT0_PS1_S1_,comdat
.Lfunc_end88:
	.size	_Z6kernelI14exclusive_scanhLj31ELj100EEvPKT0_PS1_S1_, .Lfunc_end88-_Z6kernelI14exclusive_scanhLj31ELj100EEvPKT0_PS1_S1_
                                        ; -- End function
	.section	.AMDGPU.csdata,"",@progbits
; Kernel info:
; codeLenInByte = 524
; NumSgprs: 18
; NumVgprs: 9
; ScratchSize: 0
; MemoryBound: 0
; FloatMode: 240
; IeeeMode: 1
; LDSByteSize: 31 bytes/workgroup (compile time only)
; SGPRBlocks: 2
; VGPRBlocks: 1
; NumSGPRsForWavesPerEU: 18
; NumVGPRsForWavesPerEU: 9
; Occupancy: 16
; WaveLimiterHint : 0
; COMPUTE_PGM_RSRC2:SCRATCH_EN: 0
; COMPUTE_PGM_RSRC2:USER_SGPR: 15
; COMPUTE_PGM_RSRC2:TRAP_HANDLER: 0
; COMPUTE_PGM_RSRC2:TGID_X_EN: 1
; COMPUTE_PGM_RSRC2:TGID_Y_EN: 0
; COMPUTE_PGM_RSRC2:TGID_Z_EN: 0
; COMPUTE_PGM_RSRC2:TIDIG_COMP_CNT: 0
	.section	.text._Z6kernelI14exclusive_scanhLj15ELj100EEvPKT0_PS1_S1_,"axG",@progbits,_Z6kernelI14exclusive_scanhLj15ELj100EEvPKT0_PS1_S1_,comdat
	.protected	_Z6kernelI14exclusive_scanhLj15ELj100EEvPKT0_PS1_S1_ ; -- Begin function _Z6kernelI14exclusive_scanhLj15ELj100EEvPKT0_PS1_S1_
	.globl	_Z6kernelI14exclusive_scanhLj15ELj100EEvPKT0_PS1_S1_
	.p2align	8
	.type	_Z6kernelI14exclusive_scanhLj15ELj100EEvPKT0_PS1_S1_,@function
_Z6kernelI14exclusive_scanhLj15ELj100EEvPKT0_PS1_S1_: ; @_Z6kernelI14exclusive_scanhLj15ELj100EEvPKT0_PS1_S1_
; %bb.0:
	s_clause 0x2
	s_load_b32 s2, s[0:1], 0x24
	s_load_b128 s[4:7], s[0:1], 0x0
	s_load_b32 s3, s[0:1], 0x10
	s_waitcnt lgkmcnt(0)
	s_and_b32 s2, s2, 0xffff
	s_delay_alu instid0(SALU_CYCLE_1) | instskip(SKIP_1) | instid1(VALU_DEP_1)
	v_mad_u64_u32 v[1:2], null, s15, s2, v[0:1]
	v_mbcnt_lo_u32_b32 v2, -1, 0
	v_mul_hi_u32 v3, 0x11111112, v2
	global_load_u8 v0, v1, s[4:5]
	s_movk_i32 s4, 0x64
	v_mul_u32_u24_e32 v3, 15, v3
	s_delay_alu instid0(VALU_DEP_1) | instskip(NEXT) | instid1(VALU_DEP_1)
	v_sub_nc_u32_e32 v2, v2, v3
	v_cmp_ne_u32_e32 vcc_lo, 0, v2
	v_cmp_lt_u32_e64 s0, 1, v2
	v_cmp_lt_u32_e64 s1, 3, v2
	;; [unrolled: 1-line block ×3, first 2 shown]
	v_add_nc_u32_e32 v3, -1, v2
	v_add_nc_u32_e32 v4, -2, v2
	;; [unrolled: 1-line block ×4, first 2 shown]
	s_branch .LBB89_2
.LBB89_1:                               ;   in Loop: Header=BB89_2 Depth=1
	s_or_b32 exec_lo, exec_lo, s5
	s_add_i32 s4, s4, -1
	s_delay_alu instid0(SALU_CYCLE_1)
	s_cmp_lg_u32 s4, 0
	s_cbranch_scc0 .LBB89_20
.LBB89_2:                               ; =>This Inner Loop Header: Depth=1
	s_waitcnt vmcnt(0)
	ds_store_b8 v2, v0
	; wave barrier
	s_and_saveexec_b32 s5, vcc_lo
	s_cbranch_execz .LBB89_4
; %bb.3:                                ;   in Loop: Header=BB89_2 Depth=1
	ds_load_u8 v7, v3
	s_waitcnt lgkmcnt(0)
	v_add_nc_u16 v0, v7, v0
.LBB89_4:                               ;   in Loop: Header=BB89_2 Depth=1
	s_or_b32 exec_lo, exec_lo, s5
	; wave barrier
	s_and_saveexec_b32 s5, vcc_lo
	s_cbranch_execz .LBB89_6
; %bb.5:                                ;   in Loop: Header=BB89_2 Depth=1
	ds_store_b8 v2, v0
.LBB89_6:                               ;   in Loop: Header=BB89_2 Depth=1
	s_or_b32 exec_lo, exec_lo, s5
	; wave barrier
	s_and_saveexec_b32 s5, s0
	s_cbranch_execz .LBB89_8
; %bb.7:                                ;   in Loop: Header=BB89_2 Depth=1
	ds_load_u8 v7, v4
	s_waitcnt lgkmcnt(0)
	v_add_nc_u16 v0, v7, v0
.LBB89_8:                               ;   in Loop: Header=BB89_2 Depth=1
	s_or_b32 exec_lo, exec_lo, s5
	; wave barrier
	s_and_saveexec_b32 s5, s0
	s_cbranch_execz .LBB89_10
; %bb.9:                                ;   in Loop: Header=BB89_2 Depth=1
	ds_store_b8 v2, v0
.LBB89_10:                              ;   in Loop: Header=BB89_2 Depth=1
	s_or_b32 exec_lo, exec_lo, s5
	; wave barrier
	s_and_saveexec_b32 s5, s1
	s_cbranch_execz .LBB89_12
; %bb.11:                               ;   in Loop: Header=BB89_2 Depth=1
	ds_load_u8 v7, v5
	s_waitcnt lgkmcnt(0)
	v_add_nc_u16 v0, v7, v0
.LBB89_12:                              ;   in Loop: Header=BB89_2 Depth=1
	s_or_b32 exec_lo, exec_lo, s5
	; wave barrier
	s_and_saveexec_b32 s5, s1
	s_cbranch_execz .LBB89_14
; %bb.13:                               ;   in Loop: Header=BB89_2 Depth=1
	ds_store_b8 v2, v0
.LBB89_14:                              ;   in Loop: Header=BB89_2 Depth=1
	s_or_b32 exec_lo, exec_lo, s5
	; wave barrier
	s_and_saveexec_b32 s5, s2
	s_cbranch_execz .LBB89_16
; %bb.15:                               ;   in Loop: Header=BB89_2 Depth=1
	ds_load_u8 v7, v6
	s_waitcnt lgkmcnt(0)
	v_add_nc_u16 v0, v7, v0
.LBB89_16:                              ;   in Loop: Header=BB89_2 Depth=1
	s_or_b32 exec_lo, exec_lo, s5
	; wave barrier
	s_and_saveexec_b32 s5, s2
	s_cbranch_execz .LBB89_18
; %bb.17:                               ;   in Loop: Header=BB89_2 Depth=1
	ds_store_b8 v2, v0
.LBB89_18:                              ;   in Loop: Header=BB89_2 Depth=1
	s_or_b32 exec_lo, exec_lo, s5
	v_mov_b32_e32 v0, s3
	; wave barrier
	s_and_saveexec_b32 s5, vcc_lo
	s_cbranch_execz .LBB89_1
; %bb.19:                               ;   in Loop: Header=BB89_2 Depth=1
	ds_load_u8 v0, v3
	s_waitcnt lgkmcnt(0)
	v_add_nc_u16 v0, v0, s3
	s_branch .LBB89_1
.LBB89_20:
	v_add_co_u32 v1, s0, s6, v1
	s_delay_alu instid0(VALU_DEP_1)
	v_add_co_ci_u32_e64 v2, null, s7, 0, s0
	global_store_b8 v[1:2], v0, off
	s_nop 0
	s_sendmsg sendmsg(MSG_DEALLOC_VGPRS)
	s_endpgm
	.section	.rodata,"a",@progbits
	.p2align	6, 0x0
	.amdhsa_kernel _Z6kernelI14exclusive_scanhLj15ELj100EEvPKT0_PS1_S1_
		.amdhsa_group_segment_fixed_size 15
		.amdhsa_private_segment_fixed_size 0
		.amdhsa_kernarg_size 280
		.amdhsa_user_sgpr_count 15
		.amdhsa_user_sgpr_dispatch_ptr 0
		.amdhsa_user_sgpr_queue_ptr 0
		.amdhsa_user_sgpr_kernarg_segment_ptr 1
		.amdhsa_user_sgpr_dispatch_id 0
		.amdhsa_user_sgpr_private_segment_size 0
		.amdhsa_wavefront_size32 1
		.amdhsa_uses_dynamic_stack 0
		.amdhsa_enable_private_segment 0
		.amdhsa_system_sgpr_workgroup_id_x 1
		.amdhsa_system_sgpr_workgroup_id_y 0
		.amdhsa_system_sgpr_workgroup_id_z 0
		.amdhsa_system_sgpr_workgroup_info 0
		.amdhsa_system_vgpr_workitem_id 0
		.amdhsa_next_free_vgpr 8
		.amdhsa_next_free_sgpr 16
		.amdhsa_reserve_vcc 1
		.amdhsa_float_round_mode_32 0
		.amdhsa_float_round_mode_16_64 0
		.amdhsa_float_denorm_mode_32 3
		.amdhsa_float_denorm_mode_16_64 3
		.amdhsa_dx10_clamp 1
		.amdhsa_ieee_mode 1
		.amdhsa_fp16_overflow 0
		.amdhsa_workgroup_processor_mode 1
		.amdhsa_memory_ordered 1
		.amdhsa_forward_progress 0
		.amdhsa_shared_vgpr_count 0
		.amdhsa_exception_fp_ieee_invalid_op 0
		.amdhsa_exception_fp_denorm_src 0
		.amdhsa_exception_fp_ieee_div_zero 0
		.amdhsa_exception_fp_ieee_overflow 0
		.amdhsa_exception_fp_ieee_underflow 0
		.amdhsa_exception_fp_ieee_inexact 0
		.amdhsa_exception_int_div_zero 0
	.end_amdhsa_kernel
	.section	.text._Z6kernelI14exclusive_scanhLj15ELj100EEvPKT0_PS1_S1_,"axG",@progbits,_Z6kernelI14exclusive_scanhLj15ELj100EEvPKT0_PS1_S1_,comdat
.Lfunc_end89:
	.size	_Z6kernelI14exclusive_scanhLj15ELj100EEvPKT0_PS1_S1_, .Lfunc_end89-_Z6kernelI14exclusive_scanhLj15ELj100EEvPKT0_PS1_S1_
                                        ; -- End function
	.section	.AMDGPU.csdata,"",@progbits
; Kernel info:
; codeLenInByte = 460
; NumSgprs: 18
; NumVgprs: 8
; ScratchSize: 0
; MemoryBound: 0
; FloatMode: 240
; IeeeMode: 1
; LDSByteSize: 15 bytes/workgroup (compile time only)
; SGPRBlocks: 2
; VGPRBlocks: 0
; NumSGPRsForWavesPerEU: 18
; NumVGPRsForWavesPerEU: 8
; Occupancy: 16
; WaveLimiterHint : 0
; COMPUTE_PGM_RSRC2:SCRATCH_EN: 0
; COMPUTE_PGM_RSRC2:USER_SGPR: 15
; COMPUTE_PGM_RSRC2:TRAP_HANDLER: 0
; COMPUTE_PGM_RSRC2:TGID_X_EN: 1
; COMPUTE_PGM_RSRC2:TGID_Y_EN: 0
; COMPUTE_PGM_RSRC2:TGID_Z_EN: 0
; COMPUTE_PGM_RSRC2:TIDIG_COMP_CNT: 0
	.section	.text._Z6kernelI14exclusive_scan6__halfLj64ELj100EEvPKT0_PS2_S2_,"axG",@progbits,_Z6kernelI14exclusive_scan6__halfLj64ELj100EEvPKT0_PS2_S2_,comdat
	.protected	_Z6kernelI14exclusive_scan6__halfLj64ELj100EEvPKT0_PS2_S2_ ; -- Begin function _Z6kernelI14exclusive_scan6__halfLj64ELj100EEvPKT0_PS2_S2_
	.globl	_Z6kernelI14exclusive_scan6__halfLj64ELj100EEvPKT0_PS2_S2_
	.p2align	8
	.type	_Z6kernelI14exclusive_scan6__halfLj64ELj100EEvPKT0_PS2_S2_,@function
_Z6kernelI14exclusive_scan6__halfLj64ELj100EEvPKT0_PS2_S2_: ; @_Z6kernelI14exclusive_scan6__halfLj64ELj100EEvPKT0_PS2_S2_
; %bb.0:
	s_clause 0x1
	s_load_b32 s4, s[0:1], 0x24
	s_load_b128 s[0:3], s[0:1], 0x0
	s_waitcnt lgkmcnt(0)
	s_and_b32 s4, s4, 0xffff
	s_delay_alu instid0(SALU_CYCLE_1) | instskip(SKIP_1) | instid1(VALU_DEP_1)
	v_mad_u64_u32 v[1:2], null, s15, s4, v[0:1]
	v_mov_b32_e32 v2, 0
	v_lshlrev_b64 v[0:1], 1, v[1:2]
	s_delay_alu instid0(VALU_DEP_1) | instskip(NEXT) | instid1(VALU_DEP_2)
	v_add_co_u32 v2, vcc_lo, s0, v0
	v_add_co_ci_u32_e32 v3, vcc_lo, s1, v1, vcc_lo
	v_add_co_u32 v0, vcc_lo, s2, v0
	v_add_co_ci_u32_e32 v1, vcc_lo, s3, v1, vcc_lo
	global_load_u16 v2, v[2:3], off
	s_waitcnt vmcnt(0)
	global_store_b16 v[0:1], v2, off
	s_nop 0
	s_sendmsg sendmsg(MSG_DEALLOC_VGPRS)
	s_endpgm
	.section	.rodata,"a",@progbits
	.p2align	6, 0x0
	.amdhsa_kernel _Z6kernelI14exclusive_scan6__halfLj64ELj100EEvPKT0_PS2_S2_
		.amdhsa_group_segment_fixed_size 0
		.amdhsa_private_segment_fixed_size 0
		.amdhsa_kernarg_size 280
		.amdhsa_user_sgpr_count 15
		.amdhsa_user_sgpr_dispatch_ptr 0
		.amdhsa_user_sgpr_queue_ptr 0
		.amdhsa_user_sgpr_kernarg_segment_ptr 1
		.amdhsa_user_sgpr_dispatch_id 0
		.amdhsa_user_sgpr_private_segment_size 0
		.amdhsa_wavefront_size32 1
		.amdhsa_uses_dynamic_stack 0
		.amdhsa_enable_private_segment 0
		.amdhsa_system_sgpr_workgroup_id_x 1
		.amdhsa_system_sgpr_workgroup_id_y 0
		.amdhsa_system_sgpr_workgroup_id_z 0
		.amdhsa_system_sgpr_workgroup_info 0
		.amdhsa_system_vgpr_workitem_id 0
		.amdhsa_next_free_vgpr 4
		.amdhsa_next_free_sgpr 16
		.amdhsa_reserve_vcc 1
		.amdhsa_float_round_mode_32 0
		.amdhsa_float_round_mode_16_64 0
		.amdhsa_float_denorm_mode_32 3
		.amdhsa_float_denorm_mode_16_64 3
		.amdhsa_dx10_clamp 1
		.amdhsa_ieee_mode 1
		.amdhsa_fp16_overflow 0
		.amdhsa_workgroup_processor_mode 1
		.amdhsa_memory_ordered 1
		.amdhsa_forward_progress 0
		.amdhsa_shared_vgpr_count 0
		.amdhsa_exception_fp_ieee_invalid_op 0
		.amdhsa_exception_fp_denorm_src 0
		.amdhsa_exception_fp_ieee_div_zero 0
		.amdhsa_exception_fp_ieee_overflow 0
		.amdhsa_exception_fp_ieee_underflow 0
		.amdhsa_exception_fp_ieee_inexact 0
		.amdhsa_exception_int_div_zero 0
	.end_amdhsa_kernel
	.section	.text._Z6kernelI14exclusive_scan6__halfLj64ELj100EEvPKT0_PS2_S2_,"axG",@progbits,_Z6kernelI14exclusive_scan6__halfLj64ELj100EEvPKT0_PS2_S2_,comdat
.Lfunc_end90:
	.size	_Z6kernelI14exclusive_scan6__halfLj64ELj100EEvPKT0_PS2_S2_, .Lfunc_end90-_Z6kernelI14exclusive_scan6__halfLj64ELj100EEvPKT0_PS2_S2_
                                        ; -- End function
	.section	.AMDGPU.csdata,"",@progbits
; Kernel info:
; codeLenInByte = 116
; NumSgprs: 18
; NumVgprs: 4
; ScratchSize: 0
; MemoryBound: 0
; FloatMode: 240
; IeeeMode: 1
; LDSByteSize: 0 bytes/workgroup (compile time only)
; SGPRBlocks: 2
; VGPRBlocks: 0
; NumSGPRsForWavesPerEU: 18
; NumVGPRsForWavesPerEU: 4
; Occupancy: 16
; WaveLimiterHint : 0
; COMPUTE_PGM_RSRC2:SCRATCH_EN: 0
; COMPUTE_PGM_RSRC2:USER_SGPR: 15
; COMPUTE_PGM_RSRC2:TRAP_HANDLER: 0
; COMPUTE_PGM_RSRC2:TGID_X_EN: 1
; COMPUTE_PGM_RSRC2:TGID_Y_EN: 0
; COMPUTE_PGM_RSRC2:TGID_Z_EN: 0
; COMPUTE_PGM_RSRC2:TIDIG_COMP_CNT: 0
	.section	.text._Z6kernelI14exclusive_scan6__halfLj32ELj100EEvPKT0_PS2_S2_,"axG",@progbits,_Z6kernelI14exclusive_scan6__halfLj32ELj100EEvPKT0_PS2_S2_,comdat
	.protected	_Z6kernelI14exclusive_scan6__halfLj32ELj100EEvPKT0_PS2_S2_ ; -- Begin function _Z6kernelI14exclusive_scan6__halfLj32ELj100EEvPKT0_PS2_S2_
	.globl	_Z6kernelI14exclusive_scan6__halfLj32ELj100EEvPKT0_PS2_S2_
	.p2align	8
	.type	_Z6kernelI14exclusive_scan6__halfLj32ELj100EEvPKT0_PS2_S2_,@function
_Z6kernelI14exclusive_scan6__halfLj32ELj100EEvPKT0_PS2_S2_: ; @_Z6kernelI14exclusive_scan6__halfLj32ELj100EEvPKT0_PS2_S2_
; %bb.0:
	s_clause 0x1
	s_load_b32 s2, s[0:1], 0x24
	s_load_b128 s[4:7], s[0:1], 0x0
	v_mbcnt_lo_u32_b32 v4, -1, 0
	s_load_b32 s8, s[0:1], 0x10
	s_delay_alu instid0(VALU_DEP_1) | instskip(SKIP_1) | instid1(VALU_DEP_2)
	v_add_nc_u32_e32 v5, -1, v4
	v_and_b32_e32 v6, 16, v4
	v_cmp_gt_i32_e64 s0, 0, v5
	s_delay_alu instid0(VALU_DEP_2) | instskip(NEXT) | instid1(VALU_DEP_2)
	v_cmp_eq_u32_e64 s3, 0, v6
	v_cndmask_b32_e64 v5, v5, v4, s0
	s_waitcnt lgkmcnt(0)
	s_and_b32 s2, s2, 0xffff
	s_delay_alu instid0(SALU_CYCLE_1) | instskip(SKIP_1) | instid1(VALU_DEP_1)
	v_mad_u64_u32 v[1:2], null, s15, s2, v[0:1]
	v_mov_b32_e32 v2, 0
	v_lshlrev_b64 v[0:1], 1, v[1:2]
	s_delay_alu instid0(VALU_DEP_1) | instskip(NEXT) | instid1(VALU_DEP_2)
	v_add_co_u32 v2, vcc_lo, s4, v0
	v_add_co_ci_u32_e32 v3, vcc_lo, s5, v1, vcc_lo
	v_cmp_eq_u32_e64 s4, 0, v4
	s_movk_i32 s5, 0x64
	global_load_u16 v2, v[2:3], off
	v_and_b32_e32 v3, 15, v4
	s_delay_alu instid0(VALU_DEP_1)
	v_cmp_eq_u32_e32 vcc_lo, 0, v3
	v_cmp_lt_u32_e64 s0, 1, v3
	v_cmp_lt_u32_e64 s1, 3, v3
	;; [unrolled: 1-line block ×3, first 2 shown]
	v_lshlrev_b32_e32 v3, 2, v5
	s_set_inst_prefetch_distance 0x1
	.p2align	6
.LBB91_1:                               ; =>This Inner Loop Header: Depth=1
	s_waitcnt vmcnt(0)
	s_delay_alu instid0(VALU_DEP_1) | instskip(SKIP_1) | instid1(SALU_CYCLE_1)
	v_and_b32_e32 v4, 0xffff, v2
	s_add_i32 s5, s5, -1
	s_cmp_lg_u32 s5, 0
	s_delay_alu instid0(VALU_DEP_1) | instskip(NEXT) | instid1(VALU_DEP_1)
	v_mov_b32_dpp v4, v4 row_shr:1 row_mask:0xf bank_mask:0xf
	v_add_f16_e32 v4, v2, v4
	s_delay_alu instid0(VALU_DEP_1) | instskip(NEXT) | instid1(VALU_DEP_1)
	v_cndmask_b32_e32 v2, v4, v2, vcc_lo
	v_and_b32_e32 v4, 0xffff, v2
	s_delay_alu instid0(VALU_DEP_1) | instskip(NEXT) | instid1(VALU_DEP_1)
	v_mov_b32_dpp v4, v4 row_shr:2 row_mask:0xf bank_mask:0xf
	v_add_f16_e32 v4, v2, v4
	s_delay_alu instid0(VALU_DEP_1) | instskip(NEXT) | instid1(VALU_DEP_1)
	v_cndmask_b32_e64 v2, v2, v4, s0
	v_and_b32_e32 v4, 0xffff, v2
	s_delay_alu instid0(VALU_DEP_1) | instskip(NEXT) | instid1(VALU_DEP_1)
	v_mov_b32_dpp v4, v4 row_shr:4 row_mask:0xf bank_mask:0xf
	v_add_f16_e32 v4, v2, v4
	s_delay_alu instid0(VALU_DEP_1) | instskip(NEXT) | instid1(VALU_DEP_1)
	v_cndmask_b32_e64 v2, v2, v4, s1
	;; [unrolled: 6-line block ×3, first 2 shown]
	v_and_b32_e32 v4, 0xffff, v2
	ds_swizzle_b32 v4, v4 offset:swizzle(BROADCAST,32,15)
	s_waitcnt lgkmcnt(0)
	v_add_f16_e32 v4, v2, v4
	s_delay_alu instid0(VALU_DEP_1) | instskip(NEXT) | instid1(VALU_DEP_1)
	v_cndmask_b32_e64 v2, v4, v2, s3
	v_add_f16_e32 v2, s8, v2
	s_delay_alu instid0(VALU_DEP_1)
	v_and_b32_e32 v2, 0xffff, v2
	ds_bpermute_b32 v2, v3, v2
	s_waitcnt lgkmcnt(0)
	v_cndmask_b32_e64 v2, v2, s8, s4
	s_cbranch_scc1 .LBB91_1
; %bb.2:
	s_set_inst_prefetch_distance 0x2
	v_add_co_u32 v0, vcc_lo, s6, v0
	v_add_co_ci_u32_e32 v1, vcc_lo, s7, v1, vcc_lo
	global_store_b16 v[0:1], v2, off
	s_nop 0
	s_sendmsg sendmsg(MSG_DEALLOC_VGPRS)
	s_endpgm
	.section	.rodata,"a",@progbits
	.p2align	6, 0x0
	.amdhsa_kernel _Z6kernelI14exclusive_scan6__halfLj32ELj100EEvPKT0_PS2_S2_
		.amdhsa_group_segment_fixed_size 0
		.amdhsa_private_segment_fixed_size 0
		.amdhsa_kernarg_size 280
		.amdhsa_user_sgpr_count 15
		.amdhsa_user_sgpr_dispatch_ptr 0
		.amdhsa_user_sgpr_queue_ptr 0
		.amdhsa_user_sgpr_kernarg_segment_ptr 1
		.amdhsa_user_sgpr_dispatch_id 0
		.amdhsa_user_sgpr_private_segment_size 0
		.amdhsa_wavefront_size32 1
		.amdhsa_uses_dynamic_stack 0
		.amdhsa_enable_private_segment 0
		.amdhsa_system_sgpr_workgroup_id_x 1
		.amdhsa_system_sgpr_workgroup_id_y 0
		.amdhsa_system_sgpr_workgroup_id_z 0
		.amdhsa_system_sgpr_workgroup_info 0
		.amdhsa_system_vgpr_workitem_id 0
		.amdhsa_next_free_vgpr 7
		.amdhsa_next_free_sgpr 16
		.amdhsa_reserve_vcc 1
		.amdhsa_float_round_mode_32 0
		.amdhsa_float_round_mode_16_64 0
		.amdhsa_float_denorm_mode_32 3
		.amdhsa_float_denorm_mode_16_64 3
		.amdhsa_dx10_clamp 1
		.amdhsa_ieee_mode 1
		.amdhsa_fp16_overflow 0
		.amdhsa_workgroup_processor_mode 1
		.amdhsa_memory_ordered 1
		.amdhsa_forward_progress 0
		.amdhsa_shared_vgpr_count 0
		.amdhsa_exception_fp_ieee_invalid_op 0
		.amdhsa_exception_fp_denorm_src 0
		.amdhsa_exception_fp_ieee_div_zero 0
		.amdhsa_exception_fp_ieee_overflow 0
		.amdhsa_exception_fp_ieee_underflow 0
		.amdhsa_exception_fp_ieee_inexact 0
		.amdhsa_exception_int_div_zero 0
	.end_amdhsa_kernel
	.section	.text._Z6kernelI14exclusive_scan6__halfLj32ELj100EEvPKT0_PS2_S2_,"axG",@progbits,_Z6kernelI14exclusive_scan6__halfLj32ELj100EEvPKT0_PS2_S2_,comdat
.Lfunc_end91:
	.size	_Z6kernelI14exclusive_scan6__halfLj32ELj100EEvPKT0_PS2_S2_, .Lfunc_end91-_Z6kernelI14exclusive_scan6__halfLj32ELj100EEvPKT0_PS2_S2_
                                        ; -- End function
	.section	.AMDGPU.csdata,"",@progbits
; Kernel info:
; codeLenInByte = 460
; NumSgprs: 18
; NumVgprs: 7
; ScratchSize: 0
; MemoryBound: 0
; FloatMode: 240
; IeeeMode: 1
; LDSByteSize: 0 bytes/workgroup (compile time only)
; SGPRBlocks: 2
; VGPRBlocks: 0
; NumSGPRsForWavesPerEU: 18
; NumVGPRsForWavesPerEU: 7
; Occupancy: 16
; WaveLimiterHint : 0
; COMPUTE_PGM_RSRC2:SCRATCH_EN: 0
; COMPUTE_PGM_RSRC2:USER_SGPR: 15
; COMPUTE_PGM_RSRC2:TRAP_HANDLER: 0
; COMPUTE_PGM_RSRC2:TGID_X_EN: 1
; COMPUTE_PGM_RSRC2:TGID_Y_EN: 0
; COMPUTE_PGM_RSRC2:TGID_Z_EN: 0
; COMPUTE_PGM_RSRC2:TIDIG_COMP_CNT: 0
	.section	.text._Z6kernelI14exclusive_scan6__halfLj16ELj100EEvPKT0_PS2_S2_,"axG",@progbits,_Z6kernelI14exclusive_scan6__halfLj16ELj100EEvPKT0_PS2_S2_,comdat
	.protected	_Z6kernelI14exclusive_scan6__halfLj16ELj100EEvPKT0_PS2_S2_ ; -- Begin function _Z6kernelI14exclusive_scan6__halfLj16ELj100EEvPKT0_PS2_S2_
	.globl	_Z6kernelI14exclusive_scan6__halfLj16ELj100EEvPKT0_PS2_S2_
	.p2align	8
	.type	_Z6kernelI14exclusive_scan6__halfLj16ELj100EEvPKT0_PS2_S2_,@function
_Z6kernelI14exclusive_scan6__halfLj16ELj100EEvPKT0_PS2_S2_: ; @_Z6kernelI14exclusive_scan6__halfLj16ELj100EEvPKT0_PS2_S2_
; %bb.0:
	s_clause 0x2
	s_load_b32 s2, s[0:1], 0x24
	s_load_b128 s[4:7], s[0:1], 0x0
	s_load_b32 s3, s[0:1], 0x10
	s_waitcnt lgkmcnt(0)
	s_and_b32 s2, s2, 0xffff
	s_delay_alu instid0(SALU_CYCLE_1) | instskip(SKIP_1) | instid1(VALU_DEP_1)
	v_mad_u64_u32 v[1:2], null, s15, s2, v[0:1]
	v_mov_b32_e32 v2, 0
	v_lshlrev_b64 v[0:1], 1, v[1:2]
	s_delay_alu instid0(VALU_DEP_1) | instskip(NEXT) | instid1(VALU_DEP_2)
	v_add_co_u32 v2, vcc_lo, s4, v0
	v_add_co_ci_u32_e32 v3, vcc_lo, s5, v1, vcc_lo
	s_movk_i32 s4, 0x64
	global_load_u16 v2, v[2:3], off
	v_mbcnt_lo_u32_b32 v3, -1, 0
	s_delay_alu instid0(VALU_DEP_1) | instskip(SKIP_2) | instid1(VALU_DEP_2)
	v_and_b32_e32 v5, 16, v3
	v_add_nc_u32_e32 v4, -1, v3
	v_and_b32_e32 v6, 15, v3
	v_cmp_lt_i32_e32 vcc_lo, v4, v5
	s_delay_alu instid0(VALU_DEP_2) | instskip(SKIP_4) | instid1(VALU_DEP_2)
	v_cmp_lt_u32_e64 s0, 1, v6
	v_cmp_lt_u32_e64 s1, 3, v6
	;; [unrolled: 1-line block ×3, first 2 shown]
	v_cndmask_b32_e32 v3, v4, v3, vcc_lo
	v_cmp_eq_u32_e32 vcc_lo, 0, v6
	v_lshlrev_b32_e32 v3, 2, v3
	s_set_inst_prefetch_distance 0x1
	.p2align	6
.LBB92_1:                               ; =>This Inner Loop Header: Depth=1
	s_waitcnt vmcnt(0)
	s_delay_alu instid0(VALU_DEP_1) | instskip(SKIP_1) | instid1(SALU_CYCLE_1)
	v_and_b32_e32 v4, 0xffff, v2
	s_add_i32 s4, s4, -1
	s_cmp_lg_u32 s4, 0
	s_delay_alu instid0(VALU_DEP_1) | instskip(NEXT) | instid1(VALU_DEP_1)
	v_mov_b32_dpp v4, v4 row_shr:1 row_mask:0xf bank_mask:0xf
	v_add_f16_e32 v4, v2, v4
	s_delay_alu instid0(VALU_DEP_1) | instskip(NEXT) | instid1(VALU_DEP_1)
	v_cndmask_b32_e32 v2, v4, v2, vcc_lo
	v_and_b32_e32 v4, 0xffff, v2
	s_delay_alu instid0(VALU_DEP_1) | instskip(NEXT) | instid1(VALU_DEP_1)
	v_mov_b32_dpp v4, v4 row_shr:2 row_mask:0xf bank_mask:0xf
	v_add_f16_e32 v4, v2, v4
	s_delay_alu instid0(VALU_DEP_1) | instskip(NEXT) | instid1(VALU_DEP_1)
	v_cndmask_b32_e64 v2, v2, v4, s0
	v_and_b32_e32 v4, 0xffff, v2
	s_delay_alu instid0(VALU_DEP_1) | instskip(NEXT) | instid1(VALU_DEP_1)
	v_mov_b32_dpp v4, v4 row_shr:4 row_mask:0xf bank_mask:0xf
	v_add_f16_e32 v4, v2, v4
	s_delay_alu instid0(VALU_DEP_1) | instskip(NEXT) | instid1(VALU_DEP_1)
	v_cndmask_b32_e64 v2, v2, v4, s1
	;; [unrolled: 6-line block ×3, first 2 shown]
	v_add_f16_e32 v2, s3, v2
	s_delay_alu instid0(VALU_DEP_1)
	v_and_b32_e32 v2, 0xffff, v2
	ds_bpermute_b32 v2, v3, v2
	s_waitcnt lgkmcnt(0)
	v_cndmask_b32_e64 v2, v2, s3, vcc_lo
	s_cbranch_scc1 .LBB92_1
; %bb.2:
	s_set_inst_prefetch_distance 0x2
	v_add_co_u32 v0, vcc_lo, s6, v0
	v_add_co_ci_u32_e32 v1, vcc_lo, s7, v1, vcc_lo
	global_store_b16 v[0:1], v2, off
	s_nop 0
	s_sendmsg sendmsg(MSG_DEALLOC_VGPRS)
	s_endpgm
	.section	.rodata,"a",@progbits
	.p2align	6, 0x0
	.amdhsa_kernel _Z6kernelI14exclusive_scan6__halfLj16ELj100EEvPKT0_PS2_S2_
		.amdhsa_group_segment_fixed_size 0
		.amdhsa_private_segment_fixed_size 0
		.amdhsa_kernarg_size 280
		.amdhsa_user_sgpr_count 15
		.amdhsa_user_sgpr_dispatch_ptr 0
		.amdhsa_user_sgpr_queue_ptr 0
		.amdhsa_user_sgpr_kernarg_segment_ptr 1
		.amdhsa_user_sgpr_dispatch_id 0
		.amdhsa_user_sgpr_private_segment_size 0
		.amdhsa_wavefront_size32 1
		.amdhsa_uses_dynamic_stack 0
		.amdhsa_enable_private_segment 0
		.amdhsa_system_sgpr_workgroup_id_x 1
		.amdhsa_system_sgpr_workgroup_id_y 0
		.amdhsa_system_sgpr_workgroup_id_z 0
		.amdhsa_system_sgpr_workgroup_info 0
		.amdhsa_system_vgpr_workitem_id 0
		.amdhsa_next_free_vgpr 7
		.amdhsa_next_free_sgpr 16
		.amdhsa_reserve_vcc 1
		.amdhsa_float_round_mode_32 0
		.amdhsa_float_round_mode_16_64 0
		.amdhsa_float_denorm_mode_32 3
		.amdhsa_float_denorm_mode_16_64 3
		.amdhsa_dx10_clamp 1
		.amdhsa_ieee_mode 1
		.amdhsa_fp16_overflow 0
		.amdhsa_workgroup_processor_mode 1
		.amdhsa_memory_ordered 1
		.amdhsa_forward_progress 0
		.amdhsa_shared_vgpr_count 0
		.amdhsa_exception_fp_ieee_invalid_op 0
		.amdhsa_exception_fp_denorm_src 0
		.amdhsa_exception_fp_ieee_div_zero 0
		.amdhsa_exception_fp_ieee_overflow 0
		.amdhsa_exception_fp_ieee_underflow 0
		.amdhsa_exception_fp_ieee_inexact 0
		.amdhsa_exception_int_div_zero 0
	.end_amdhsa_kernel
	.section	.text._Z6kernelI14exclusive_scan6__halfLj16ELj100EEvPKT0_PS2_S2_,"axG",@progbits,_Z6kernelI14exclusive_scan6__halfLj16ELj100EEvPKT0_PS2_S2_,comdat
.Lfunc_end92:
	.size	_Z6kernelI14exclusive_scan6__halfLj16ELj100EEvPKT0_PS2_S2_, .Lfunc_end92-_Z6kernelI14exclusive_scan6__halfLj16ELj100EEvPKT0_PS2_S2_
                                        ; -- End function
	.section	.AMDGPU.csdata,"",@progbits
; Kernel info:
; codeLenInByte = 396
; NumSgprs: 18
; NumVgprs: 7
; ScratchSize: 0
; MemoryBound: 0
; FloatMode: 240
; IeeeMode: 1
; LDSByteSize: 0 bytes/workgroup (compile time only)
; SGPRBlocks: 2
; VGPRBlocks: 0
; NumSGPRsForWavesPerEU: 18
; NumVGPRsForWavesPerEU: 7
; Occupancy: 16
; WaveLimiterHint : 0
; COMPUTE_PGM_RSRC2:SCRATCH_EN: 0
; COMPUTE_PGM_RSRC2:USER_SGPR: 15
; COMPUTE_PGM_RSRC2:TRAP_HANDLER: 0
; COMPUTE_PGM_RSRC2:TGID_X_EN: 1
; COMPUTE_PGM_RSRC2:TGID_Y_EN: 0
; COMPUTE_PGM_RSRC2:TGID_Z_EN: 0
; COMPUTE_PGM_RSRC2:TIDIG_COMP_CNT: 0
	.section	.text._Z6kernelI14exclusive_scan6__halfLj63ELj100EEvPKT0_PS2_S2_,"axG",@progbits,_Z6kernelI14exclusive_scan6__halfLj63ELj100EEvPKT0_PS2_S2_,comdat
	.protected	_Z6kernelI14exclusive_scan6__halfLj63ELj100EEvPKT0_PS2_S2_ ; -- Begin function _Z6kernelI14exclusive_scan6__halfLj63ELj100EEvPKT0_PS2_S2_
	.globl	_Z6kernelI14exclusive_scan6__halfLj63ELj100EEvPKT0_PS2_S2_
	.p2align	8
	.type	_Z6kernelI14exclusive_scan6__halfLj63ELj100EEvPKT0_PS2_S2_,@function
_Z6kernelI14exclusive_scan6__halfLj63ELj100EEvPKT0_PS2_S2_: ; @_Z6kernelI14exclusive_scan6__halfLj63ELj100EEvPKT0_PS2_S2_
; %bb.0:
	s_clause 0x1
	s_load_b32 s4, s[0:1], 0x24
	s_load_b128 s[0:3], s[0:1], 0x0
	s_waitcnt lgkmcnt(0)
	s_and_b32 s4, s4, 0xffff
	s_delay_alu instid0(SALU_CYCLE_1) | instskip(SKIP_1) | instid1(VALU_DEP_1)
	v_mad_u64_u32 v[1:2], null, s15, s4, v[0:1]
	v_mov_b32_e32 v2, 0
	v_lshlrev_b64 v[0:1], 1, v[1:2]
	s_delay_alu instid0(VALU_DEP_1) | instskip(NEXT) | instid1(VALU_DEP_2)
	v_add_co_u32 v2, vcc_lo, s0, v0
	v_add_co_ci_u32_e32 v3, vcc_lo, s1, v1, vcc_lo
	v_add_co_u32 v0, vcc_lo, s2, v0
	v_add_co_ci_u32_e32 v1, vcc_lo, s3, v1, vcc_lo
	global_load_u16 v2, v[2:3], off
	s_waitcnt vmcnt(0)
	global_store_b16 v[0:1], v2, off
	s_nop 0
	s_sendmsg sendmsg(MSG_DEALLOC_VGPRS)
	s_endpgm
	.section	.rodata,"a",@progbits
	.p2align	6, 0x0
	.amdhsa_kernel _Z6kernelI14exclusive_scan6__halfLj63ELj100EEvPKT0_PS2_S2_
		.amdhsa_group_segment_fixed_size 0
		.amdhsa_private_segment_fixed_size 0
		.amdhsa_kernarg_size 280
		.amdhsa_user_sgpr_count 15
		.amdhsa_user_sgpr_dispatch_ptr 0
		.amdhsa_user_sgpr_queue_ptr 0
		.amdhsa_user_sgpr_kernarg_segment_ptr 1
		.amdhsa_user_sgpr_dispatch_id 0
		.amdhsa_user_sgpr_private_segment_size 0
		.amdhsa_wavefront_size32 1
		.amdhsa_uses_dynamic_stack 0
		.amdhsa_enable_private_segment 0
		.amdhsa_system_sgpr_workgroup_id_x 1
		.amdhsa_system_sgpr_workgroup_id_y 0
		.amdhsa_system_sgpr_workgroup_id_z 0
		.amdhsa_system_sgpr_workgroup_info 0
		.amdhsa_system_vgpr_workitem_id 0
		.amdhsa_next_free_vgpr 4
		.amdhsa_next_free_sgpr 16
		.amdhsa_reserve_vcc 1
		.amdhsa_float_round_mode_32 0
		.amdhsa_float_round_mode_16_64 0
		.amdhsa_float_denorm_mode_32 3
		.amdhsa_float_denorm_mode_16_64 3
		.amdhsa_dx10_clamp 1
		.amdhsa_ieee_mode 1
		.amdhsa_fp16_overflow 0
		.amdhsa_workgroup_processor_mode 1
		.amdhsa_memory_ordered 1
		.amdhsa_forward_progress 0
		.amdhsa_shared_vgpr_count 0
		.amdhsa_exception_fp_ieee_invalid_op 0
		.amdhsa_exception_fp_denorm_src 0
		.amdhsa_exception_fp_ieee_div_zero 0
		.amdhsa_exception_fp_ieee_overflow 0
		.amdhsa_exception_fp_ieee_underflow 0
		.amdhsa_exception_fp_ieee_inexact 0
		.amdhsa_exception_int_div_zero 0
	.end_amdhsa_kernel
	.section	.text._Z6kernelI14exclusive_scan6__halfLj63ELj100EEvPKT0_PS2_S2_,"axG",@progbits,_Z6kernelI14exclusive_scan6__halfLj63ELj100EEvPKT0_PS2_S2_,comdat
.Lfunc_end93:
	.size	_Z6kernelI14exclusive_scan6__halfLj63ELj100EEvPKT0_PS2_S2_, .Lfunc_end93-_Z6kernelI14exclusive_scan6__halfLj63ELj100EEvPKT0_PS2_S2_
                                        ; -- End function
	.section	.AMDGPU.csdata,"",@progbits
; Kernel info:
; codeLenInByte = 116
; NumSgprs: 18
; NumVgprs: 4
; ScratchSize: 0
; MemoryBound: 0
; FloatMode: 240
; IeeeMode: 1
; LDSByteSize: 0 bytes/workgroup (compile time only)
; SGPRBlocks: 2
; VGPRBlocks: 0
; NumSGPRsForWavesPerEU: 18
; NumVGPRsForWavesPerEU: 4
; Occupancy: 16
; WaveLimiterHint : 0
; COMPUTE_PGM_RSRC2:SCRATCH_EN: 0
; COMPUTE_PGM_RSRC2:USER_SGPR: 15
; COMPUTE_PGM_RSRC2:TRAP_HANDLER: 0
; COMPUTE_PGM_RSRC2:TGID_X_EN: 1
; COMPUTE_PGM_RSRC2:TGID_Y_EN: 0
; COMPUTE_PGM_RSRC2:TGID_Z_EN: 0
; COMPUTE_PGM_RSRC2:TIDIG_COMP_CNT: 0
	.section	.text._Z6kernelI14exclusive_scan6__halfLj31ELj100EEvPKT0_PS2_S2_,"axG",@progbits,_Z6kernelI14exclusive_scan6__halfLj31ELj100EEvPKT0_PS2_S2_,comdat
	.protected	_Z6kernelI14exclusive_scan6__halfLj31ELj100EEvPKT0_PS2_S2_ ; -- Begin function _Z6kernelI14exclusive_scan6__halfLj31ELj100EEvPKT0_PS2_S2_
	.globl	_Z6kernelI14exclusive_scan6__halfLj31ELj100EEvPKT0_PS2_S2_
	.p2align	8
	.type	_Z6kernelI14exclusive_scan6__halfLj31ELj100EEvPKT0_PS2_S2_,@function
_Z6kernelI14exclusive_scan6__halfLj31ELj100EEvPKT0_PS2_S2_: ; @_Z6kernelI14exclusive_scan6__halfLj31ELj100EEvPKT0_PS2_S2_
; %bb.0:
	s_clause 0x2
	s_load_b32 s2, s[0:1], 0x24
	s_load_b128 s[4:7], s[0:1], 0x0
	s_load_b32 s8, s[0:1], 0x10
	s_waitcnt lgkmcnt(0)
	s_and_b32 s2, s2, 0xffff
	s_delay_alu instid0(SALU_CYCLE_1) | instskip(SKIP_1) | instid1(VALU_DEP_1)
	v_mad_u64_u32 v[1:2], null, s15, s2, v[0:1]
	v_mov_b32_e32 v2, 0
	v_lshlrev_b64 v[0:1], 1, v[1:2]
	s_delay_alu instid0(VALU_DEP_1) | instskip(NEXT) | instid1(VALU_DEP_2)
	v_add_co_u32 v2, vcc_lo, s4, v0
	v_add_co_ci_u32_e32 v3, vcc_lo, s5, v1, vcc_lo
	s_movk_i32 s4, 0x64
	global_load_u16 v2, v[2:3], off
	v_mbcnt_lo_u32_b32 v3, -1, 0
	s_delay_alu instid0(VALU_DEP_1) | instskip(NEXT) | instid1(VALU_DEP_1)
	v_mul_hi_u32 v4, 0x8421085, v3
	v_mul_u32_u24_e32 v4, 31, v4
	s_delay_alu instid0(VALU_DEP_1) | instskip(NEXT) | instid1(VALU_DEP_1)
	v_sub_nc_u32_e32 v4, v3, v4
	v_lshlrev_b32_e32 v3, 1, v4
	v_cmp_ne_u32_e32 vcc_lo, 0, v4
	v_cmp_lt_u32_e64 s0, 1, v4
	v_cmp_lt_u32_e64 s1, 3, v4
	;; [unrolled: 1-line block ×4, first 2 shown]
	v_add_nc_u32_e32 v4, -2, v3
	v_add_nc_u32_e32 v5, -4, v3
	;; [unrolled: 1-line block ×4, first 2 shown]
	v_subrev_nc_u32_e32 v8, 32, v3
	s_branch .LBB94_2
.LBB94_1:                               ;   in Loop: Header=BB94_2 Depth=1
	s_or_b32 exec_lo, exec_lo, s5
	s_add_i32 s4, s4, -1
	s_delay_alu instid0(SALU_CYCLE_1)
	s_cmp_lg_u32 s4, 0
	s_cbranch_scc0 .LBB94_24
.LBB94_2:                               ; =>This Inner Loop Header: Depth=1
	s_waitcnt vmcnt(0)
	ds_store_b16 v3, v2
	; wave barrier
	s_and_saveexec_b32 s5, vcc_lo
	s_cbranch_execz .LBB94_4
; %bb.3:                                ;   in Loop: Header=BB94_2 Depth=1
	ds_load_u16 v9, v4
	s_waitcnt lgkmcnt(0)
	v_add_f16_e32 v2, v2, v9
.LBB94_4:                               ;   in Loop: Header=BB94_2 Depth=1
	s_or_b32 exec_lo, exec_lo, s5
	; wave barrier
	s_and_saveexec_b32 s5, vcc_lo
	s_cbranch_execz .LBB94_6
; %bb.5:                                ;   in Loop: Header=BB94_2 Depth=1
	ds_store_b16 v3, v2
.LBB94_6:                               ;   in Loop: Header=BB94_2 Depth=1
	s_or_b32 exec_lo, exec_lo, s5
	; wave barrier
	s_and_saveexec_b32 s5, s0
	s_cbranch_execz .LBB94_8
; %bb.7:                                ;   in Loop: Header=BB94_2 Depth=1
	ds_load_u16 v9, v5
	s_waitcnt lgkmcnt(0)
	v_add_f16_e32 v2, v2, v9
.LBB94_8:                               ;   in Loop: Header=BB94_2 Depth=1
	s_or_b32 exec_lo, exec_lo, s5
	; wave barrier
	s_and_saveexec_b32 s5, s0
	s_cbranch_execz .LBB94_10
; %bb.9:                                ;   in Loop: Header=BB94_2 Depth=1
	ds_store_b16 v3, v2
.LBB94_10:                              ;   in Loop: Header=BB94_2 Depth=1
	s_or_b32 exec_lo, exec_lo, s5
	; wave barrier
	s_and_saveexec_b32 s5, s1
	s_cbranch_execz .LBB94_12
; %bb.11:                               ;   in Loop: Header=BB94_2 Depth=1
	ds_load_u16 v9, v6
	s_waitcnt lgkmcnt(0)
	v_add_f16_e32 v2, v2, v9
.LBB94_12:                              ;   in Loop: Header=BB94_2 Depth=1
	s_or_b32 exec_lo, exec_lo, s5
	; wave barrier
	s_and_saveexec_b32 s5, s1
	s_cbranch_execz .LBB94_14
; %bb.13:                               ;   in Loop: Header=BB94_2 Depth=1
	ds_store_b16 v3, v2
.LBB94_14:                              ;   in Loop: Header=BB94_2 Depth=1
	s_or_b32 exec_lo, exec_lo, s5
	; wave barrier
	s_and_saveexec_b32 s5, s2
	s_cbranch_execz .LBB94_16
; %bb.15:                               ;   in Loop: Header=BB94_2 Depth=1
	ds_load_u16 v9, v7
	s_waitcnt lgkmcnt(0)
	v_add_f16_e32 v2, v2, v9
.LBB94_16:                              ;   in Loop: Header=BB94_2 Depth=1
	s_or_b32 exec_lo, exec_lo, s5
	; wave barrier
	s_and_saveexec_b32 s5, s2
	s_cbranch_execz .LBB94_18
; %bb.17:                               ;   in Loop: Header=BB94_2 Depth=1
	ds_store_b16 v3, v2
.LBB94_18:                              ;   in Loop: Header=BB94_2 Depth=1
	;; [unrolled: 16-line block ×3, first 2 shown]
	s_or_b32 exec_lo, exec_lo, s5
	v_mov_b32_e32 v2, s8
	; wave barrier
	s_and_saveexec_b32 s5, vcc_lo
	s_cbranch_execz .LBB94_1
; %bb.23:                               ;   in Loop: Header=BB94_2 Depth=1
	ds_load_u16 v2, v4
	s_waitcnt lgkmcnt(0)
	v_add_f16_e32 v2, s8, v2
	s_branch .LBB94_1
.LBB94_24:
	v_add_co_u32 v0, vcc_lo, s6, v0
	v_add_co_ci_u32_e32 v1, vcc_lo, s7, v1, vcc_lo
	global_store_b16 v[0:1], v2, off
	s_nop 0
	s_sendmsg sendmsg(MSG_DEALLOC_VGPRS)
	s_endpgm
	.section	.rodata,"a",@progbits
	.p2align	6, 0x0
	.amdhsa_kernel _Z6kernelI14exclusive_scan6__halfLj31ELj100EEvPKT0_PS2_S2_
		.amdhsa_group_segment_fixed_size 62
		.amdhsa_private_segment_fixed_size 0
		.amdhsa_kernarg_size 280
		.amdhsa_user_sgpr_count 15
		.amdhsa_user_sgpr_dispatch_ptr 0
		.amdhsa_user_sgpr_queue_ptr 0
		.amdhsa_user_sgpr_kernarg_segment_ptr 1
		.amdhsa_user_sgpr_dispatch_id 0
		.amdhsa_user_sgpr_private_segment_size 0
		.amdhsa_wavefront_size32 1
		.amdhsa_uses_dynamic_stack 0
		.amdhsa_enable_private_segment 0
		.amdhsa_system_sgpr_workgroup_id_x 1
		.amdhsa_system_sgpr_workgroup_id_y 0
		.amdhsa_system_sgpr_workgroup_id_z 0
		.amdhsa_system_sgpr_workgroup_info 0
		.amdhsa_system_vgpr_workitem_id 0
		.amdhsa_next_free_vgpr 10
		.amdhsa_next_free_sgpr 16
		.amdhsa_reserve_vcc 1
		.amdhsa_float_round_mode_32 0
		.amdhsa_float_round_mode_16_64 0
		.amdhsa_float_denorm_mode_32 3
		.amdhsa_float_denorm_mode_16_64 3
		.amdhsa_dx10_clamp 1
		.amdhsa_ieee_mode 1
		.amdhsa_fp16_overflow 0
		.amdhsa_workgroup_processor_mode 1
		.amdhsa_memory_ordered 1
		.amdhsa_forward_progress 0
		.amdhsa_shared_vgpr_count 0
		.amdhsa_exception_fp_ieee_invalid_op 0
		.amdhsa_exception_fp_denorm_src 0
		.amdhsa_exception_fp_ieee_div_zero 0
		.amdhsa_exception_fp_ieee_overflow 0
		.amdhsa_exception_fp_ieee_underflow 0
		.amdhsa_exception_fp_ieee_inexact 0
		.amdhsa_exception_int_div_zero 0
	.end_amdhsa_kernel
	.section	.text._Z6kernelI14exclusive_scan6__halfLj31ELj100EEvPKT0_PS2_S2_,"axG",@progbits,_Z6kernelI14exclusive_scan6__halfLj31ELj100EEvPKT0_PS2_S2_,comdat
.Lfunc_end94:
	.size	_Z6kernelI14exclusive_scan6__halfLj31ELj100EEvPKT0_PS2_S2_, .Lfunc_end94-_Z6kernelI14exclusive_scan6__halfLj31ELj100EEvPKT0_PS2_S2_
                                        ; -- End function
	.section	.AMDGPU.csdata,"",@progbits
; Kernel info:
; codeLenInByte = 528
; NumSgprs: 18
; NumVgprs: 10
; ScratchSize: 0
; MemoryBound: 0
; FloatMode: 240
; IeeeMode: 1
; LDSByteSize: 62 bytes/workgroup (compile time only)
; SGPRBlocks: 2
; VGPRBlocks: 1
; NumSGPRsForWavesPerEU: 18
; NumVGPRsForWavesPerEU: 10
; Occupancy: 16
; WaveLimiterHint : 0
; COMPUTE_PGM_RSRC2:SCRATCH_EN: 0
; COMPUTE_PGM_RSRC2:USER_SGPR: 15
; COMPUTE_PGM_RSRC2:TRAP_HANDLER: 0
; COMPUTE_PGM_RSRC2:TGID_X_EN: 1
; COMPUTE_PGM_RSRC2:TGID_Y_EN: 0
; COMPUTE_PGM_RSRC2:TGID_Z_EN: 0
; COMPUTE_PGM_RSRC2:TIDIG_COMP_CNT: 0
	.section	.text._Z6kernelI14exclusive_scan6__halfLj15ELj100EEvPKT0_PS2_S2_,"axG",@progbits,_Z6kernelI14exclusive_scan6__halfLj15ELj100EEvPKT0_PS2_S2_,comdat
	.protected	_Z6kernelI14exclusive_scan6__halfLj15ELj100EEvPKT0_PS2_S2_ ; -- Begin function _Z6kernelI14exclusive_scan6__halfLj15ELj100EEvPKT0_PS2_S2_
	.globl	_Z6kernelI14exclusive_scan6__halfLj15ELj100EEvPKT0_PS2_S2_
	.p2align	8
	.type	_Z6kernelI14exclusive_scan6__halfLj15ELj100EEvPKT0_PS2_S2_,@function
_Z6kernelI14exclusive_scan6__halfLj15ELj100EEvPKT0_PS2_S2_: ; @_Z6kernelI14exclusive_scan6__halfLj15ELj100EEvPKT0_PS2_S2_
; %bb.0:
	s_clause 0x2
	s_load_b32 s2, s[0:1], 0x24
	s_load_b128 s[4:7], s[0:1], 0x0
	s_load_b32 s3, s[0:1], 0x10
	s_waitcnt lgkmcnt(0)
	s_and_b32 s2, s2, 0xffff
	s_delay_alu instid0(SALU_CYCLE_1) | instskip(SKIP_1) | instid1(VALU_DEP_1)
	v_mad_u64_u32 v[1:2], null, s15, s2, v[0:1]
	v_mov_b32_e32 v2, 0
	v_lshlrev_b64 v[0:1], 1, v[1:2]
	s_delay_alu instid0(VALU_DEP_1) | instskip(NEXT) | instid1(VALU_DEP_2)
	v_add_co_u32 v2, vcc_lo, s4, v0
	v_add_co_ci_u32_e32 v3, vcc_lo, s5, v1, vcc_lo
	s_movk_i32 s4, 0x64
	global_load_u16 v2, v[2:3], off
	v_mbcnt_lo_u32_b32 v3, -1, 0
	s_delay_alu instid0(VALU_DEP_1) | instskip(NEXT) | instid1(VALU_DEP_1)
	v_mul_hi_u32 v4, 0x11111112, v3
	v_mul_u32_u24_e32 v4, 15, v4
	s_delay_alu instid0(VALU_DEP_1) | instskip(NEXT) | instid1(VALU_DEP_1)
	v_sub_nc_u32_e32 v4, v3, v4
	v_lshlrev_b32_e32 v3, 1, v4
	v_cmp_ne_u32_e32 vcc_lo, 0, v4
	v_cmp_lt_u32_e64 s0, 1, v4
	v_cmp_lt_u32_e64 s1, 3, v4
	;; [unrolled: 1-line block ×3, first 2 shown]
	v_add_nc_u32_e32 v4, -2, v3
	v_add_nc_u32_e32 v5, -4, v3
	;; [unrolled: 1-line block ×4, first 2 shown]
	s_branch .LBB95_2
.LBB95_1:                               ;   in Loop: Header=BB95_2 Depth=1
	s_or_b32 exec_lo, exec_lo, s5
	s_add_i32 s4, s4, -1
	s_delay_alu instid0(SALU_CYCLE_1)
	s_cmp_lg_u32 s4, 0
	s_cbranch_scc0 .LBB95_20
.LBB95_2:                               ; =>This Inner Loop Header: Depth=1
	s_waitcnt vmcnt(0)
	ds_store_b16 v3, v2
	; wave barrier
	s_and_saveexec_b32 s5, vcc_lo
	s_cbranch_execz .LBB95_4
; %bb.3:                                ;   in Loop: Header=BB95_2 Depth=1
	ds_load_u16 v8, v4
	s_waitcnt lgkmcnt(0)
	v_add_f16_e32 v2, v2, v8
.LBB95_4:                               ;   in Loop: Header=BB95_2 Depth=1
	s_or_b32 exec_lo, exec_lo, s5
	; wave barrier
	s_and_saveexec_b32 s5, vcc_lo
	s_cbranch_execz .LBB95_6
; %bb.5:                                ;   in Loop: Header=BB95_2 Depth=1
	ds_store_b16 v3, v2
.LBB95_6:                               ;   in Loop: Header=BB95_2 Depth=1
	s_or_b32 exec_lo, exec_lo, s5
	; wave barrier
	s_and_saveexec_b32 s5, s0
	s_cbranch_execz .LBB95_8
; %bb.7:                                ;   in Loop: Header=BB95_2 Depth=1
	ds_load_u16 v8, v5
	s_waitcnt lgkmcnt(0)
	v_add_f16_e32 v2, v2, v8
.LBB95_8:                               ;   in Loop: Header=BB95_2 Depth=1
	s_or_b32 exec_lo, exec_lo, s5
	; wave barrier
	s_and_saveexec_b32 s5, s0
	s_cbranch_execz .LBB95_10
; %bb.9:                                ;   in Loop: Header=BB95_2 Depth=1
	ds_store_b16 v3, v2
.LBB95_10:                              ;   in Loop: Header=BB95_2 Depth=1
	s_or_b32 exec_lo, exec_lo, s5
	; wave barrier
	s_and_saveexec_b32 s5, s1
	s_cbranch_execz .LBB95_12
; %bb.11:                               ;   in Loop: Header=BB95_2 Depth=1
	ds_load_u16 v8, v6
	s_waitcnt lgkmcnt(0)
	v_add_f16_e32 v2, v2, v8
.LBB95_12:                              ;   in Loop: Header=BB95_2 Depth=1
	s_or_b32 exec_lo, exec_lo, s5
	; wave barrier
	s_and_saveexec_b32 s5, s1
	s_cbranch_execz .LBB95_14
; %bb.13:                               ;   in Loop: Header=BB95_2 Depth=1
	ds_store_b16 v3, v2
.LBB95_14:                              ;   in Loop: Header=BB95_2 Depth=1
	s_or_b32 exec_lo, exec_lo, s5
	; wave barrier
	s_and_saveexec_b32 s5, s2
	s_cbranch_execz .LBB95_16
; %bb.15:                               ;   in Loop: Header=BB95_2 Depth=1
	ds_load_u16 v8, v7
	s_waitcnt lgkmcnt(0)
	v_add_f16_e32 v2, v2, v8
.LBB95_16:                              ;   in Loop: Header=BB95_2 Depth=1
	s_or_b32 exec_lo, exec_lo, s5
	; wave barrier
	s_and_saveexec_b32 s5, s2
	s_cbranch_execz .LBB95_18
; %bb.17:                               ;   in Loop: Header=BB95_2 Depth=1
	ds_store_b16 v3, v2
.LBB95_18:                              ;   in Loop: Header=BB95_2 Depth=1
	s_or_b32 exec_lo, exec_lo, s5
	v_mov_b32_e32 v2, s3
	; wave barrier
	s_and_saveexec_b32 s5, vcc_lo
	s_cbranch_execz .LBB95_1
; %bb.19:                               ;   in Loop: Header=BB95_2 Depth=1
	ds_load_u16 v2, v4
	s_waitcnt lgkmcnt(0)
	v_add_f16_e32 v2, s3, v2
	s_branch .LBB95_1
.LBB95_20:
	v_add_co_u32 v0, vcc_lo, s6, v0
	v_add_co_ci_u32_e32 v1, vcc_lo, s7, v1, vcc_lo
	global_store_b16 v[0:1], v2, off
	s_nop 0
	s_sendmsg sendmsg(MSG_DEALLOC_VGPRS)
	s_endpgm
	.section	.rodata,"a",@progbits
	.p2align	6, 0x0
	.amdhsa_kernel _Z6kernelI14exclusive_scan6__halfLj15ELj100EEvPKT0_PS2_S2_
		.amdhsa_group_segment_fixed_size 30
		.amdhsa_private_segment_fixed_size 0
		.amdhsa_kernarg_size 280
		.amdhsa_user_sgpr_count 15
		.amdhsa_user_sgpr_dispatch_ptr 0
		.amdhsa_user_sgpr_queue_ptr 0
		.amdhsa_user_sgpr_kernarg_segment_ptr 1
		.amdhsa_user_sgpr_dispatch_id 0
		.amdhsa_user_sgpr_private_segment_size 0
		.amdhsa_wavefront_size32 1
		.amdhsa_uses_dynamic_stack 0
		.amdhsa_enable_private_segment 0
		.amdhsa_system_sgpr_workgroup_id_x 1
		.amdhsa_system_sgpr_workgroup_id_y 0
		.amdhsa_system_sgpr_workgroup_id_z 0
		.amdhsa_system_sgpr_workgroup_info 0
		.amdhsa_system_vgpr_workitem_id 0
		.amdhsa_next_free_vgpr 9
		.amdhsa_next_free_sgpr 16
		.amdhsa_reserve_vcc 1
		.amdhsa_float_round_mode_32 0
		.amdhsa_float_round_mode_16_64 0
		.amdhsa_float_denorm_mode_32 3
		.amdhsa_float_denorm_mode_16_64 3
		.amdhsa_dx10_clamp 1
		.amdhsa_ieee_mode 1
		.amdhsa_fp16_overflow 0
		.amdhsa_workgroup_processor_mode 1
		.amdhsa_memory_ordered 1
		.amdhsa_forward_progress 0
		.amdhsa_shared_vgpr_count 0
		.amdhsa_exception_fp_ieee_invalid_op 0
		.amdhsa_exception_fp_denorm_src 0
		.amdhsa_exception_fp_ieee_div_zero 0
		.amdhsa_exception_fp_ieee_overflow 0
		.amdhsa_exception_fp_ieee_underflow 0
		.amdhsa_exception_fp_ieee_inexact 0
		.amdhsa_exception_int_div_zero 0
	.end_amdhsa_kernel
	.section	.text._Z6kernelI14exclusive_scan6__halfLj15ELj100EEvPKT0_PS2_S2_,"axG",@progbits,_Z6kernelI14exclusive_scan6__halfLj15ELj100EEvPKT0_PS2_S2_,comdat
.Lfunc_end95:
	.size	_Z6kernelI14exclusive_scan6__halfLj15ELj100EEvPKT0_PS2_S2_, .Lfunc_end95-_Z6kernelI14exclusive_scan6__halfLj15ELj100EEvPKT0_PS2_S2_
                                        ; -- End function
	.section	.AMDGPU.csdata,"",@progbits
; Kernel info:
; codeLenInByte = 468
; NumSgprs: 18
; NumVgprs: 9
; ScratchSize: 0
; MemoryBound: 0
; FloatMode: 240
; IeeeMode: 1
; LDSByteSize: 30 bytes/workgroup (compile time only)
; SGPRBlocks: 2
; VGPRBlocks: 1
; NumSGPRsForWavesPerEU: 18
; NumVGPRsForWavesPerEU: 9
; Occupancy: 16
; WaveLimiterHint : 0
; COMPUTE_PGM_RSRC2:SCRATCH_EN: 0
; COMPUTE_PGM_RSRC2:USER_SGPR: 15
; COMPUTE_PGM_RSRC2:TRAP_HANDLER: 0
; COMPUTE_PGM_RSRC2:TGID_X_EN: 1
; COMPUTE_PGM_RSRC2:TGID_Y_EN: 0
; COMPUTE_PGM_RSRC2:TGID_Z_EN: 0
; COMPUTE_PGM_RSRC2:TIDIG_COMP_CNT: 0
	.section	.text._Z6kernelI14exclusive_scanN6common11custom_typeIddLb0EEELj64ELj100EEvPKT0_PS4_S4_,"axG",@progbits,_Z6kernelI14exclusive_scanN6common11custom_typeIddLb0EEELj64ELj100EEvPKT0_PS4_S4_,comdat
	.protected	_Z6kernelI14exclusive_scanN6common11custom_typeIddLb0EEELj64ELj100EEvPKT0_PS4_S4_ ; -- Begin function _Z6kernelI14exclusive_scanN6common11custom_typeIddLb0EEELj64ELj100EEvPKT0_PS4_S4_
	.globl	_Z6kernelI14exclusive_scanN6common11custom_typeIddLb0EEELj64ELj100EEvPKT0_PS4_S4_
	.p2align	8
	.type	_Z6kernelI14exclusive_scanN6common11custom_typeIddLb0EEELj64ELj100EEvPKT0_PS4_S4_,@function
_Z6kernelI14exclusive_scanN6common11custom_typeIddLb0EEELj64ELj100EEvPKT0_PS4_S4_: ; @_Z6kernelI14exclusive_scanN6common11custom_typeIddLb0EEELj64ELj100EEvPKT0_PS4_S4_
; %bb.0:
	s_clause 0x1
	s_load_b32 s4, s[0:1], 0x2c
	s_load_b128 s[0:3], s[0:1], 0x0
	s_waitcnt lgkmcnt(0)
	s_and_b32 s4, s4, 0xffff
	s_delay_alu instid0(SALU_CYCLE_1) | instskip(SKIP_1) | instid1(VALU_DEP_1)
	v_mad_u64_u32 v[1:2], null, s15, s4, v[0:1]
	v_mov_b32_e32 v2, 0
	v_lshlrev_b64 v[4:5], 4, v[1:2]
	s_delay_alu instid0(VALU_DEP_1) | instskip(NEXT) | instid1(VALU_DEP_2)
	v_add_co_u32 v0, vcc_lo, s0, v4
	v_add_co_ci_u32_e32 v1, vcc_lo, s1, v5, vcc_lo
	v_add_co_u32 v4, vcc_lo, s2, v4
	v_add_co_ci_u32_e32 v5, vcc_lo, s3, v5, vcc_lo
	global_load_b128 v[0:3], v[0:1], off
	s_waitcnt vmcnt(0)
	global_store_b128 v[4:5], v[0:3], off
	s_nop 0
	s_sendmsg sendmsg(MSG_DEALLOC_VGPRS)
	s_endpgm
	.section	.rodata,"a",@progbits
	.p2align	6, 0x0
	.amdhsa_kernel _Z6kernelI14exclusive_scanN6common11custom_typeIddLb0EEELj64ELj100EEvPKT0_PS4_S4_
		.amdhsa_group_segment_fixed_size 0
		.amdhsa_private_segment_fixed_size 0
		.amdhsa_kernarg_size 288
		.amdhsa_user_sgpr_count 15
		.amdhsa_user_sgpr_dispatch_ptr 0
		.amdhsa_user_sgpr_queue_ptr 0
		.amdhsa_user_sgpr_kernarg_segment_ptr 1
		.amdhsa_user_sgpr_dispatch_id 0
		.amdhsa_user_sgpr_private_segment_size 0
		.amdhsa_wavefront_size32 1
		.amdhsa_uses_dynamic_stack 0
		.amdhsa_enable_private_segment 0
		.amdhsa_system_sgpr_workgroup_id_x 1
		.amdhsa_system_sgpr_workgroup_id_y 0
		.amdhsa_system_sgpr_workgroup_id_z 0
		.amdhsa_system_sgpr_workgroup_info 0
		.amdhsa_system_vgpr_workitem_id 0
		.amdhsa_next_free_vgpr 6
		.amdhsa_next_free_sgpr 16
		.amdhsa_reserve_vcc 1
		.amdhsa_float_round_mode_32 0
		.amdhsa_float_round_mode_16_64 0
		.amdhsa_float_denorm_mode_32 3
		.amdhsa_float_denorm_mode_16_64 3
		.amdhsa_dx10_clamp 1
		.amdhsa_ieee_mode 1
		.amdhsa_fp16_overflow 0
		.amdhsa_workgroup_processor_mode 1
		.amdhsa_memory_ordered 1
		.amdhsa_forward_progress 0
		.amdhsa_shared_vgpr_count 0
		.amdhsa_exception_fp_ieee_invalid_op 0
		.amdhsa_exception_fp_denorm_src 0
		.amdhsa_exception_fp_ieee_div_zero 0
		.amdhsa_exception_fp_ieee_overflow 0
		.amdhsa_exception_fp_ieee_underflow 0
		.amdhsa_exception_fp_ieee_inexact 0
		.amdhsa_exception_int_div_zero 0
	.end_amdhsa_kernel
	.section	.text._Z6kernelI14exclusive_scanN6common11custom_typeIddLb0EEELj64ELj100EEvPKT0_PS4_S4_,"axG",@progbits,_Z6kernelI14exclusive_scanN6common11custom_typeIddLb0EEELj64ELj100EEvPKT0_PS4_S4_,comdat
.Lfunc_end96:
	.size	_Z6kernelI14exclusive_scanN6common11custom_typeIddLb0EEELj64ELj100EEvPKT0_PS4_S4_, .Lfunc_end96-_Z6kernelI14exclusive_scanN6common11custom_typeIddLb0EEELj64ELj100EEvPKT0_PS4_S4_
                                        ; -- End function
	.section	.AMDGPU.csdata,"",@progbits
; Kernel info:
; codeLenInByte = 116
; NumSgprs: 18
; NumVgprs: 6
; ScratchSize: 0
; MemoryBound: 0
; FloatMode: 240
; IeeeMode: 1
; LDSByteSize: 0 bytes/workgroup (compile time only)
; SGPRBlocks: 2
; VGPRBlocks: 0
; NumSGPRsForWavesPerEU: 18
; NumVGPRsForWavesPerEU: 6
; Occupancy: 16
; WaveLimiterHint : 0
; COMPUTE_PGM_RSRC2:SCRATCH_EN: 0
; COMPUTE_PGM_RSRC2:USER_SGPR: 15
; COMPUTE_PGM_RSRC2:TRAP_HANDLER: 0
; COMPUTE_PGM_RSRC2:TGID_X_EN: 1
; COMPUTE_PGM_RSRC2:TGID_Y_EN: 0
; COMPUTE_PGM_RSRC2:TGID_Z_EN: 0
; COMPUTE_PGM_RSRC2:TIDIG_COMP_CNT: 0
	.section	.text._Z6kernelI14exclusive_scanN6common11custom_typeIddLb0EEELj32ELj100EEvPKT0_PS4_S4_,"axG",@progbits,_Z6kernelI14exclusive_scanN6common11custom_typeIddLb0EEELj32ELj100EEvPKT0_PS4_S4_,comdat
	.protected	_Z6kernelI14exclusive_scanN6common11custom_typeIddLb0EEELj32ELj100EEvPKT0_PS4_S4_ ; -- Begin function _Z6kernelI14exclusive_scanN6common11custom_typeIddLb0EEELj32ELj100EEvPKT0_PS4_S4_
	.globl	_Z6kernelI14exclusive_scanN6common11custom_typeIddLb0EEELj32ELj100EEvPKT0_PS4_S4_
	.p2align	8
	.type	_Z6kernelI14exclusive_scanN6common11custom_typeIddLb0EEELj32ELj100EEvPKT0_PS4_S4_,@function
_Z6kernelI14exclusive_scanN6common11custom_typeIddLb0EEELj32ELj100EEvPKT0_PS4_S4_: ; @_Z6kernelI14exclusive_scanN6common11custom_typeIddLb0EEELj32ELj100EEvPKT0_PS4_S4_
; %bb.0:
	s_clause 0x1
	s_load_b32 s2, s[0:1], 0x2c
	s_load_b256 s[4:11], s[0:1], 0x0
	v_mbcnt_lo_u32_b32 v6, -1, 0
	s_delay_alu instid0(VALU_DEP_1) | instskip(SKIP_2) | instid1(VALU_DEP_2)
	v_add_nc_u32_e32 v8, -1, v6
	v_and_b32_e32 v9, 16, v6
	v_and_b32_e32 v7, 15, v6
	v_cmp_ne_u32_e64 s3, 0, v9
	s_delay_alu instid0(VALU_DEP_2)
	v_cmp_lt_u32_e64 s1, 3, v7
	s_waitcnt lgkmcnt(0)
	s_and_b32 s0, s2, 0xffff
	v_cmp_lt_u32_e64 s2, 7, v7
	v_mad_u64_u32 v[1:2], null, s15, s0, v[0:1]
	v_mov_b32_e32 v2, 0
	v_cmp_gt_i32_e64 s0, 0, v8
	s_delay_alu instid0(VALU_DEP_1) | instskip(NEXT) | instid1(VALU_DEP_3)
	v_cndmask_b32_e64 v8, v8, v6, s0
	v_lshlrev_b64 v[4:5], 4, v[1:2]
	v_cmp_lt_u32_e64 s0, 1, v7
	s_delay_alu instid0(VALU_DEP_3) | instskip(NEXT) | instid1(VALU_DEP_3)
	v_lshlrev_b32_e32 v10, 2, v8
	v_add_co_u32 v0, vcc_lo, s4, v4
	s_delay_alu instid0(VALU_DEP_4)
	v_add_co_ci_u32_e32 v1, vcc_lo, s5, v5, vcc_lo
	v_cmp_ne_u32_e32 vcc_lo, 0, v7
	v_cmp_eq_u32_e64 s4, 0, v6
	s_movk_i32 s5, 0x64
	global_load_b128 v[0:3], v[0:1], off
	s_branch .LBB97_2
.LBB97_1:                               ;   in Loop: Header=BB97_2 Depth=1
	s_or_b32 exec_lo, exec_lo, s12
	s_delay_alu instid0(VALU_DEP_1) | instskip(NEXT) | instid1(VALU_DEP_3)
	v_add_f64 v[0:1], s[8:9], v[0:1]
	v_add_f64 v[2:3], s[10:11], v[2:3]
	s_add_i32 s5, s5, -1
	s_delay_alu instid0(SALU_CYCLE_1)
	s_cmp_lg_u32 s5, 0
	ds_bpermute_b32 v1, v10, v1
	ds_bpermute_b32 v0, v10, v0
	;; [unrolled: 1-line block ×4, first 2 shown]
	s_waitcnt lgkmcnt(3)
	v_cndmask_b32_e64 v1, v1, s9, s4
	s_waitcnt lgkmcnt(2)
	v_cndmask_b32_e64 v0, v0, s8, s4
	;; [unrolled: 2-line block ×4, first 2 shown]
	s_cbranch_scc0 .LBB97_12
.LBB97_2:                               ; =>This Inner Loop Header: Depth=1
	s_waitcnt vmcnt(0)
	v_mov_b32_dpp v6, v0 row_shr:1 row_mask:0xf bank_mask:0xf
	v_mov_b32_dpp v7, v1 row_shr:1 row_mask:0xf bank_mask:0xf
	;; [unrolled: 1-line block ×4, first 2 shown]
	s_and_saveexec_b32 s12, vcc_lo
; %bb.3:                                ;   in Loop: Header=BB97_2 Depth=1
	s_delay_alu instid0(VALU_DEP_1)
	v_add_f64 v[2:3], v[2:3], v[8:9]
	v_add_f64 v[0:1], v[0:1], v[6:7]
; %bb.4:                                ;   in Loop: Header=BB97_2 Depth=1
	s_or_b32 exec_lo, exec_lo, s12
	s_delay_alu instid0(VALU_DEP_1) | instskip(NEXT) | instid1(VALU_DEP_2)
	v_mov_b32_dpp v6, v0 row_shr:2 row_mask:0xf bank_mask:0xf
	v_mov_b32_dpp v7, v1 row_shr:2 row_mask:0xf bank_mask:0xf
	s_delay_alu instid0(VALU_DEP_4)
	v_mov_b32_dpp v8, v2 row_shr:2 row_mask:0xf bank_mask:0xf
	v_mov_b32_dpp v9, v3 row_shr:2 row_mask:0xf bank_mask:0xf
	s_and_saveexec_b32 s12, s0
; %bb.5:                                ;   in Loop: Header=BB97_2 Depth=1
	s_delay_alu instid0(VALU_DEP_1)
	v_add_f64 v[2:3], v[2:3], v[8:9]
	v_add_f64 v[0:1], v[0:1], v[6:7]
; %bb.6:                                ;   in Loop: Header=BB97_2 Depth=1
	s_or_b32 exec_lo, exec_lo, s12
	s_delay_alu instid0(VALU_DEP_1) | instskip(NEXT) | instid1(VALU_DEP_2)
	v_mov_b32_dpp v6, v0 row_shr:4 row_mask:0xf bank_mask:0xf
	v_mov_b32_dpp v7, v1 row_shr:4 row_mask:0xf bank_mask:0xf
	s_delay_alu instid0(VALU_DEP_4)
	v_mov_b32_dpp v8, v2 row_shr:4 row_mask:0xf bank_mask:0xf
	v_mov_b32_dpp v9, v3 row_shr:4 row_mask:0xf bank_mask:0xf
	s_and_saveexec_b32 s12, s1
	;; [unrolled: 13-line block ×3, first 2 shown]
; %bb.9:                                ;   in Loop: Header=BB97_2 Depth=1
	s_delay_alu instid0(VALU_DEP_1)
	v_add_f64 v[2:3], v[2:3], v[8:9]
	v_add_f64 v[0:1], v[0:1], v[6:7]
; %bb.10:                               ;   in Loop: Header=BB97_2 Depth=1
	s_or_b32 exec_lo, exec_lo, s12
	ds_swizzle_b32 v6, v0 offset:swizzle(BROADCAST,32,15)
	ds_swizzle_b32 v7, v1 offset:swizzle(BROADCAST,32,15)
	;; [unrolled: 1-line block ×4, first 2 shown]
	s_and_saveexec_b32 s12, s3
	s_cbranch_execz .LBB97_1
; %bb.11:                               ;   in Loop: Header=BB97_2 Depth=1
	s_waitcnt lgkmcnt(0)
	v_add_f64 v[2:3], v[2:3], v[8:9]
	v_add_f64 v[0:1], v[0:1], v[6:7]
	s_branch .LBB97_1
.LBB97_12:
	v_add_co_u32 v4, vcc_lo, s6, v4
	v_add_co_ci_u32_e32 v5, vcc_lo, s7, v5, vcc_lo
	global_store_b128 v[4:5], v[0:3], off
	s_nop 0
	s_sendmsg sendmsg(MSG_DEALLOC_VGPRS)
	s_endpgm
	.section	.rodata,"a",@progbits
	.p2align	6, 0x0
	.amdhsa_kernel _Z6kernelI14exclusive_scanN6common11custom_typeIddLb0EEELj32ELj100EEvPKT0_PS4_S4_
		.amdhsa_group_segment_fixed_size 0
		.amdhsa_private_segment_fixed_size 0
		.amdhsa_kernarg_size 288
		.amdhsa_user_sgpr_count 15
		.amdhsa_user_sgpr_dispatch_ptr 0
		.amdhsa_user_sgpr_queue_ptr 0
		.amdhsa_user_sgpr_kernarg_segment_ptr 1
		.amdhsa_user_sgpr_dispatch_id 0
		.amdhsa_user_sgpr_private_segment_size 0
		.amdhsa_wavefront_size32 1
		.amdhsa_uses_dynamic_stack 0
		.amdhsa_enable_private_segment 0
		.amdhsa_system_sgpr_workgroup_id_x 1
		.amdhsa_system_sgpr_workgroup_id_y 0
		.amdhsa_system_sgpr_workgroup_id_z 0
		.amdhsa_system_sgpr_workgroup_info 0
		.amdhsa_system_vgpr_workitem_id 0
		.amdhsa_next_free_vgpr 11
		.amdhsa_next_free_sgpr 16
		.amdhsa_reserve_vcc 1
		.amdhsa_float_round_mode_32 0
		.amdhsa_float_round_mode_16_64 0
		.amdhsa_float_denorm_mode_32 3
		.amdhsa_float_denorm_mode_16_64 3
		.amdhsa_dx10_clamp 1
		.amdhsa_ieee_mode 1
		.amdhsa_fp16_overflow 0
		.amdhsa_workgroup_processor_mode 1
		.amdhsa_memory_ordered 1
		.amdhsa_forward_progress 0
		.amdhsa_shared_vgpr_count 0
		.amdhsa_exception_fp_ieee_invalid_op 0
		.amdhsa_exception_fp_denorm_src 0
		.amdhsa_exception_fp_ieee_div_zero 0
		.amdhsa_exception_fp_ieee_overflow 0
		.amdhsa_exception_fp_ieee_underflow 0
		.amdhsa_exception_fp_ieee_inexact 0
		.amdhsa_exception_int_div_zero 0
	.end_amdhsa_kernel
	.section	.text._Z6kernelI14exclusive_scanN6common11custom_typeIddLb0EEELj32ELj100EEvPKT0_PS4_S4_,"axG",@progbits,_Z6kernelI14exclusive_scanN6common11custom_typeIddLb0EEELj32ELj100EEvPKT0_PS4_S4_,comdat
.Lfunc_end97:
	.size	_Z6kernelI14exclusive_scanN6common11custom_typeIddLb0EEELj32ELj100EEvPKT0_PS4_S4_, .Lfunc_end97-_Z6kernelI14exclusive_scanN6common11custom_typeIddLb0EEELj32ELj100EEvPKT0_PS4_S4_
                                        ; -- End function
	.section	.AMDGPU.csdata,"",@progbits
; Kernel info:
; codeLenInByte = 668
; NumSgprs: 18
; NumVgprs: 11
; ScratchSize: 0
; MemoryBound: 0
; FloatMode: 240
; IeeeMode: 1
; LDSByteSize: 0 bytes/workgroup (compile time only)
; SGPRBlocks: 2
; VGPRBlocks: 1
; NumSGPRsForWavesPerEU: 18
; NumVGPRsForWavesPerEU: 11
; Occupancy: 16
; WaveLimiterHint : 0
; COMPUTE_PGM_RSRC2:SCRATCH_EN: 0
; COMPUTE_PGM_RSRC2:USER_SGPR: 15
; COMPUTE_PGM_RSRC2:TRAP_HANDLER: 0
; COMPUTE_PGM_RSRC2:TGID_X_EN: 1
; COMPUTE_PGM_RSRC2:TGID_Y_EN: 0
; COMPUTE_PGM_RSRC2:TGID_Z_EN: 0
; COMPUTE_PGM_RSRC2:TIDIG_COMP_CNT: 0
	.section	.text._Z6kernelI14exclusive_scanN6common11custom_typeIddLb0EEELj16ELj100EEvPKT0_PS4_S4_,"axG",@progbits,_Z6kernelI14exclusive_scanN6common11custom_typeIddLb0EEELj16ELj100EEvPKT0_PS4_S4_,comdat
	.protected	_Z6kernelI14exclusive_scanN6common11custom_typeIddLb0EEELj16ELj100EEvPKT0_PS4_S4_ ; -- Begin function _Z6kernelI14exclusive_scanN6common11custom_typeIddLb0EEELj16ELj100EEvPKT0_PS4_S4_
	.globl	_Z6kernelI14exclusive_scanN6common11custom_typeIddLb0EEELj16ELj100EEvPKT0_PS4_S4_
	.p2align	8
	.type	_Z6kernelI14exclusive_scanN6common11custom_typeIddLb0EEELj16ELj100EEvPKT0_PS4_S4_,@function
_Z6kernelI14exclusive_scanN6common11custom_typeIddLb0EEELj16ELj100EEvPKT0_PS4_S4_: ; @_Z6kernelI14exclusive_scanN6common11custom_typeIddLb0EEELj16ELj100EEvPKT0_PS4_S4_
; %bb.0:
	s_clause 0x1
	s_load_b32 s2, s[0:1], 0x2c
	s_load_b256 s[4:11], s[0:1], 0x0
	v_mbcnt_lo_u32_b32 v6, -1, 0
	s_delay_alu instid0(VALU_DEP_1) | instskip(SKIP_2) | instid1(VALU_DEP_1)
	v_add_nc_u32_e32 v8, -1, v6
	v_and_b32_e32 v9, 16, v6
	v_and_b32_e32 v7, 15, v6
	v_cmp_lt_u32_e64 s1, 1, v7
	v_cmp_lt_u32_e64 s3, 7, v7
	s_waitcnt lgkmcnt(0)
	s_and_b32 s0, s2, 0xffff
	v_cmp_lt_u32_e64 s2, 3, v7
	v_mad_u64_u32 v[1:2], null, s15, s0, v[0:1]
	v_mov_b32_e32 v2, 0
	v_cmp_lt_i32_e64 s0, v8, v9
	s_delay_alu instid0(VALU_DEP_1) | instskip(NEXT) | instid1(VALU_DEP_3)
	v_cndmask_b32_e64 v6, v8, v6, s0
	v_lshlrev_b64 v[4:5], 4, v[1:2]
	v_cmp_ne_u32_e64 s0, 0, v7
	s_delay_alu instid0(VALU_DEP_3) | instskip(NEXT) | instid1(VALU_DEP_3)
	v_lshlrev_b32_e32 v10, 2, v6
	v_add_co_u32 v0, vcc_lo, s4, v4
	s_delay_alu instid0(VALU_DEP_4)
	v_add_co_ci_u32_e32 v1, vcc_lo, s5, v5, vcc_lo
	v_cmp_eq_u32_e32 vcc_lo, 0, v7
	s_movk_i32 s4, 0x64
	global_load_b128 v[0:3], v[0:1], off
	s_branch .LBB98_2
.LBB98_1:                               ;   in Loop: Header=BB98_2 Depth=1
	s_or_b32 exec_lo, exec_lo, s5
	s_delay_alu instid0(VALU_DEP_1) | instskip(NEXT) | instid1(VALU_DEP_3)
	v_add_f64 v[0:1], s[8:9], v[0:1]
	v_add_f64 v[2:3], s[10:11], v[2:3]
	s_add_i32 s4, s4, -1
	s_delay_alu instid0(SALU_CYCLE_1)
	s_cmp_lg_u32 s4, 0
	ds_bpermute_b32 v1, v10, v1
	ds_bpermute_b32 v0, v10, v0
	;; [unrolled: 1-line block ×4, first 2 shown]
	s_waitcnt lgkmcnt(3)
	v_cndmask_b32_e64 v1, v1, s9, vcc_lo
	s_waitcnt lgkmcnt(2)
	v_cndmask_b32_e64 v0, v0, s8, vcc_lo
	;; [unrolled: 2-line block ×4, first 2 shown]
	s_cbranch_scc0 .LBB98_10
.LBB98_2:                               ; =>This Inner Loop Header: Depth=1
	s_waitcnt vmcnt(0)
	v_mov_b32_dpp v6, v0 row_shr:1 row_mask:0xf bank_mask:0xf
	v_mov_b32_dpp v7, v1 row_shr:1 row_mask:0xf bank_mask:0xf
	;; [unrolled: 1-line block ×4, first 2 shown]
	s_and_saveexec_b32 s5, s0
; %bb.3:                                ;   in Loop: Header=BB98_2 Depth=1
	s_delay_alu instid0(VALU_DEP_1)
	v_add_f64 v[2:3], v[2:3], v[8:9]
	v_add_f64 v[0:1], v[0:1], v[6:7]
; %bb.4:                                ;   in Loop: Header=BB98_2 Depth=1
	s_or_b32 exec_lo, exec_lo, s5
	s_delay_alu instid0(VALU_DEP_1) | instskip(NEXT) | instid1(VALU_DEP_2)
	v_mov_b32_dpp v6, v0 row_shr:2 row_mask:0xf bank_mask:0xf
	v_mov_b32_dpp v7, v1 row_shr:2 row_mask:0xf bank_mask:0xf
	s_delay_alu instid0(VALU_DEP_4)
	v_mov_b32_dpp v8, v2 row_shr:2 row_mask:0xf bank_mask:0xf
	v_mov_b32_dpp v9, v3 row_shr:2 row_mask:0xf bank_mask:0xf
	s_and_saveexec_b32 s5, s1
; %bb.5:                                ;   in Loop: Header=BB98_2 Depth=1
	s_delay_alu instid0(VALU_DEP_1)
	v_add_f64 v[2:3], v[2:3], v[8:9]
	v_add_f64 v[0:1], v[0:1], v[6:7]
; %bb.6:                                ;   in Loop: Header=BB98_2 Depth=1
	s_or_b32 exec_lo, exec_lo, s5
	s_delay_alu instid0(VALU_DEP_1) | instskip(NEXT) | instid1(VALU_DEP_2)
	v_mov_b32_dpp v6, v0 row_shr:4 row_mask:0xf bank_mask:0xf
	v_mov_b32_dpp v7, v1 row_shr:4 row_mask:0xf bank_mask:0xf
	s_delay_alu instid0(VALU_DEP_4)
	v_mov_b32_dpp v8, v2 row_shr:4 row_mask:0xf bank_mask:0xf
	v_mov_b32_dpp v9, v3 row_shr:4 row_mask:0xf bank_mask:0xf
	;; [unrolled: 13-line block ×3, first 2 shown]
	s_and_saveexec_b32 s5, s3
	s_cbranch_execz .LBB98_1
; %bb.9:                                ;   in Loop: Header=BB98_2 Depth=1
	s_delay_alu instid0(VALU_DEP_1)
	v_add_f64 v[2:3], v[2:3], v[8:9]
	v_add_f64 v[0:1], v[0:1], v[6:7]
	s_branch .LBB98_1
.LBB98_10:
	v_add_co_u32 v4, vcc_lo, s6, v4
	v_add_co_ci_u32_e32 v5, vcc_lo, s7, v5, vcc_lo
	global_store_b128 v[4:5], v[0:3], off
	s_nop 0
	s_sendmsg sendmsg(MSG_DEALLOC_VGPRS)
	s_endpgm
	.section	.rodata,"a",@progbits
	.p2align	6, 0x0
	.amdhsa_kernel _Z6kernelI14exclusive_scanN6common11custom_typeIddLb0EEELj16ELj100EEvPKT0_PS4_S4_
		.amdhsa_group_segment_fixed_size 0
		.amdhsa_private_segment_fixed_size 0
		.amdhsa_kernarg_size 288
		.amdhsa_user_sgpr_count 15
		.amdhsa_user_sgpr_dispatch_ptr 0
		.amdhsa_user_sgpr_queue_ptr 0
		.amdhsa_user_sgpr_kernarg_segment_ptr 1
		.amdhsa_user_sgpr_dispatch_id 0
		.amdhsa_user_sgpr_private_segment_size 0
		.amdhsa_wavefront_size32 1
		.amdhsa_uses_dynamic_stack 0
		.amdhsa_enable_private_segment 0
		.amdhsa_system_sgpr_workgroup_id_x 1
		.amdhsa_system_sgpr_workgroup_id_y 0
		.amdhsa_system_sgpr_workgroup_id_z 0
		.amdhsa_system_sgpr_workgroup_info 0
		.amdhsa_system_vgpr_workitem_id 0
		.amdhsa_next_free_vgpr 11
		.amdhsa_next_free_sgpr 16
		.amdhsa_reserve_vcc 1
		.amdhsa_float_round_mode_32 0
		.amdhsa_float_round_mode_16_64 0
		.amdhsa_float_denorm_mode_32 3
		.amdhsa_float_denorm_mode_16_64 3
		.amdhsa_dx10_clamp 1
		.amdhsa_ieee_mode 1
		.amdhsa_fp16_overflow 0
		.amdhsa_workgroup_processor_mode 1
		.amdhsa_memory_ordered 1
		.amdhsa_forward_progress 0
		.amdhsa_shared_vgpr_count 0
		.amdhsa_exception_fp_ieee_invalid_op 0
		.amdhsa_exception_fp_denorm_src 0
		.amdhsa_exception_fp_ieee_div_zero 0
		.amdhsa_exception_fp_ieee_overflow 0
		.amdhsa_exception_fp_ieee_underflow 0
		.amdhsa_exception_fp_ieee_inexact 0
		.amdhsa_exception_int_div_zero 0
	.end_amdhsa_kernel
	.section	.text._Z6kernelI14exclusive_scanN6common11custom_typeIddLb0EEELj16ELj100EEvPKT0_PS4_S4_,"axG",@progbits,_Z6kernelI14exclusive_scanN6common11custom_typeIddLb0EEELj16ELj100EEvPKT0_PS4_S4_,comdat
.Lfunc_end98:
	.size	_Z6kernelI14exclusive_scanN6common11custom_typeIddLb0EEELj16ELj100EEvPKT0_PS4_S4_, .Lfunc_end98-_Z6kernelI14exclusive_scanN6common11custom_typeIddLb0EEELj16ELj100EEvPKT0_PS4_S4_
                                        ; -- End function
	.section	.AMDGPU.csdata,"",@progbits
; Kernel info:
; codeLenInByte = 596
; NumSgprs: 18
; NumVgprs: 11
; ScratchSize: 0
; MemoryBound: 0
; FloatMode: 240
; IeeeMode: 1
; LDSByteSize: 0 bytes/workgroup (compile time only)
; SGPRBlocks: 2
; VGPRBlocks: 1
; NumSGPRsForWavesPerEU: 18
; NumVGPRsForWavesPerEU: 11
; Occupancy: 16
; WaveLimiterHint : 0
; COMPUTE_PGM_RSRC2:SCRATCH_EN: 0
; COMPUTE_PGM_RSRC2:USER_SGPR: 15
; COMPUTE_PGM_RSRC2:TRAP_HANDLER: 0
; COMPUTE_PGM_RSRC2:TGID_X_EN: 1
; COMPUTE_PGM_RSRC2:TGID_Y_EN: 0
; COMPUTE_PGM_RSRC2:TGID_Z_EN: 0
; COMPUTE_PGM_RSRC2:TIDIG_COMP_CNT: 0
	.section	.text._Z6kernelI14exclusive_scanN6common11custom_typeIddLb0EEELj63ELj100EEvPKT0_PS4_S4_,"axG",@progbits,_Z6kernelI14exclusive_scanN6common11custom_typeIddLb0EEELj63ELj100EEvPKT0_PS4_S4_,comdat
	.protected	_Z6kernelI14exclusive_scanN6common11custom_typeIddLb0EEELj63ELj100EEvPKT0_PS4_S4_ ; -- Begin function _Z6kernelI14exclusive_scanN6common11custom_typeIddLb0EEELj63ELj100EEvPKT0_PS4_S4_
	.globl	_Z6kernelI14exclusive_scanN6common11custom_typeIddLb0EEELj63ELj100EEvPKT0_PS4_S4_
	.p2align	8
	.type	_Z6kernelI14exclusive_scanN6common11custom_typeIddLb0EEELj63ELj100EEvPKT0_PS4_S4_,@function
_Z6kernelI14exclusive_scanN6common11custom_typeIddLb0EEELj63ELj100EEvPKT0_PS4_S4_: ; @_Z6kernelI14exclusive_scanN6common11custom_typeIddLb0EEELj63ELj100EEvPKT0_PS4_S4_
; %bb.0:
	s_clause 0x1
	s_load_b32 s4, s[0:1], 0x2c
	s_load_b128 s[0:3], s[0:1], 0x0
	s_waitcnt lgkmcnt(0)
	s_and_b32 s4, s4, 0xffff
	s_delay_alu instid0(SALU_CYCLE_1) | instskip(SKIP_1) | instid1(VALU_DEP_1)
	v_mad_u64_u32 v[1:2], null, s15, s4, v[0:1]
	v_mov_b32_e32 v2, 0
	v_lshlrev_b64 v[4:5], 4, v[1:2]
	s_delay_alu instid0(VALU_DEP_1) | instskip(NEXT) | instid1(VALU_DEP_2)
	v_add_co_u32 v0, vcc_lo, s0, v4
	v_add_co_ci_u32_e32 v1, vcc_lo, s1, v5, vcc_lo
	v_add_co_u32 v4, vcc_lo, s2, v4
	v_add_co_ci_u32_e32 v5, vcc_lo, s3, v5, vcc_lo
	global_load_b128 v[0:3], v[0:1], off
	s_waitcnt vmcnt(0)
	global_store_b128 v[4:5], v[0:3], off
	s_nop 0
	s_sendmsg sendmsg(MSG_DEALLOC_VGPRS)
	s_endpgm
	.section	.rodata,"a",@progbits
	.p2align	6, 0x0
	.amdhsa_kernel _Z6kernelI14exclusive_scanN6common11custom_typeIddLb0EEELj63ELj100EEvPKT0_PS4_S4_
		.amdhsa_group_segment_fixed_size 0
		.amdhsa_private_segment_fixed_size 0
		.amdhsa_kernarg_size 288
		.amdhsa_user_sgpr_count 15
		.amdhsa_user_sgpr_dispatch_ptr 0
		.amdhsa_user_sgpr_queue_ptr 0
		.amdhsa_user_sgpr_kernarg_segment_ptr 1
		.amdhsa_user_sgpr_dispatch_id 0
		.amdhsa_user_sgpr_private_segment_size 0
		.amdhsa_wavefront_size32 1
		.amdhsa_uses_dynamic_stack 0
		.amdhsa_enable_private_segment 0
		.amdhsa_system_sgpr_workgroup_id_x 1
		.amdhsa_system_sgpr_workgroup_id_y 0
		.amdhsa_system_sgpr_workgroup_id_z 0
		.amdhsa_system_sgpr_workgroup_info 0
		.amdhsa_system_vgpr_workitem_id 0
		.amdhsa_next_free_vgpr 6
		.amdhsa_next_free_sgpr 16
		.amdhsa_reserve_vcc 1
		.amdhsa_float_round_mode_32 0
		.amdhsa_float_round_mode_16_64 0
		.amdhsa_float_denorm_mode_32 3
		.amdhsa_float_denorm_mode_16_64 3
		.amdhsa_dx10_clamp 1
		.amdhsa_ieee_mode 1
		.amdhsa_fp16_overflow 0
		.amdhsa_workgroup_processor_mode 1
		.amdhsa_memory_ordered 1
		.amdhsa_forward_progress 0
		.amdhsa_shared_vgpr_count 0
		.amdhsa_exception_fp_ieee_invalid_op 0
		.amdhsa_exception_fp_denorm_src 0
		.amdhsa_exception_fp_ieee_div_zero 0
		.amdhsa_exception_fp_ieee_overflow 0
		.amdhsa_exception_fp_ieee_underflow 0
		.amdhsa_exception_fp_ieee_inexact 0
		.amdhsa_exception_int_div_zero 0
	.end_amdhsa_kernel
	.section	.text._Z6kernelI14exclusive_scanN6common11custom_typeIddLb0EEELj63ELj100EEvPKT0_PS4_S4_,"axG",@progbits,_Z6kernelI14exclusive_scanN6common11custom_typeIddLb0EEELj63ELj100EEvPKT0_PS4_S4_,comdat
.Lfunc_end99:
	.size	_Z6kernelI14exclusive_scanN6common11custom_typeIddLb0EEELj63ELj100EEvPKT0_PS4_S4_, .Lfunc_end99-_Z6kernelI14exclusive_scanN6common11custom_typeIddLb0EEELj63ELj100EEvPKT0_PS4_S4_
                                        ; -- End function
	.section	.AMDGPU.csdata,"",@progbits
; Kernel info:
; codeLenInByte = 116
; NumSgprs: 18
; NumVgprs: 6
; ScratchSize: 0
; MemoryBound: 0
; FloatMode: 240
; IeeeMode: 1
; LDSByteSize: 0 bytes/workgroup (compile time only)
; SGPRBlocks: 2
; VGPRBlocks: 0
; NumSGPRsForWavesPerEU: 18
; NumVGPRsForWavesPerEU: 6
; Occupancy: 16
; WaveLimiterHint : 0
; COMPUTE_PGM_RSRC2:SCRATCH_EN: 0
; COMPUTE_PGM_RSRC2:USER_SGPR: 15
; COMPUTE_PGM_RSRC2:TRAP_HANDLER: 0
; COMPUTE_PGM_RSRC2:TGID_X_EN: 1
; COMPUTE_PGM_RSRC2:TGID_Y_EN: 0
; COMPUTE_PGM_RSRC2:TGID_Z_EN: 0
; COMPUTE_PGM_RSRC2:TIDIG_COMP_CNT: 0
	.section	.text._Z6kernelI14exclusive_scanN6common11custom_typeIddLb0EEELj31ELj100EEvPKT0_PS4_S4_,"axG",@progbits,_Z6kernelI14exclusive_scanN6common11custom_typeIddLb0EEELj31ELj100EEvPKT0_PS4_S4_,comdat
	.protected	_Z6kernelI14exclusive_scanN6common11custom_typeIddLb0EEELj31ELj100EEvPKT0_PS4_S4_ ; -- Begin function _Z6kernelI14exclusive_scanN6common11custom_typeIddLb0EEELj31ELj100EEvPKT0_PS4_S4_
	.globl	_Z6kernelI14exclusive_scanN6common11custom_typeIddLb0EEELj31ELj100EEvPKT0_PS4_S4_
	.p2align	8
	.type	_Z6kernelI14exclusive_scanN6common11custom_typeIddLb0EEELj31ELj100EEvPKT0_PS4_S4_,@function
_Z6kernelI14exclusive_scanN6common11custom_typeIddLb0EEELj31ELj100EEvPKT0_PS4_S4_: ; @_Z6kernelI14exclusive_scanN6common11custom_typeIddLb0EEELj31ELj100EEvPKT0_PS4_S4_
; %bb.0:
	s_clause 0x1
	s_load_b32 s2, s[0:1], 0x2c
	s_load_b256 s[4:11], s[0:1], 0x0
	v_mbcnt_lo_u32_b32 v6, -1, 0
	s_delay_alu instid0(VALU_DEP_1) | instskip(NEXT) | instid1(VALU_DEP_1)
	v_mul_hi_u32 v7, 0x8421085, v6
	v_mul_u32_u24_e32 v7, 31, v7
	s_delay_alu instid0(VALU_DEP_1) | instskip(SKIP_2) | instid1(SALU_CYCLE_1)
	v_sub_nc_u32_e32 v7, v6, v7
	s_waitcnt lgkmcnt(0)
	s_and_b32 s0, s2, 0xffff
	v_mad_u64_u32 v[1:2], null, s15, s0, v[0:1]
	s_delay_alu instid0(VALU_DEP_2)
	v_lshlrev_b32_e32 v6, 4, v7
	v_mov_b32_e32 v2, 0
	v_cmp_lt_u32_e64 s0, 1, v7
	v_cmp_lt_u32_e64 s1, 3, v7
	;; [unrolled: 1-line block ×4, first 2 shown]
	v_lshlrev_b64 v[4:5], 4, v[1:2]
	v_subrev_nc_u32_e32 v8, 32, v6
	v_subrev_nc_u32_e32 v9, 64, v6
	v_add_nc_u32_e32 v10, 0xffffff80, v6
	v_add_nc_u32_e32 v11, 0xffffff00, v6
	v_add_co_u32 v0, vcc_lo, s4, v4
	v_add_co_ci_u32_e32 v1, vcc_lo, s5, v5, vcc_lo
	v_cmp_ne_u32_e32 vcc_lo, 0, v7
	v_add_nc_u32_e32 v7, -16, v6
	s_movk_i32 s4, 0x64
	global_load_b128 v[0:3], v[0:1], off
	s_branch .LBB100_2
.LBB100_1:                              ;   in Loop: Header=BB100_2 Depth=1
	s_or_b32 exec_lo, exec_lo, s5
	s_add_i32 s4, s4, -1
	s_delay_alu instid0(SALU_CYCLE_1)
	s_cmp_lg_u32 s4, 0
	s_cbranch_scc0 .LBB100_24
.LBB100_2:                              ; =>This Inner Loop Header: Depth=1
	s_waitcnt vmcnt(0)
	ds_store_2addr_b64 v6, v[0:1], v[2:3] offset1:1
	; wave barrier
	s_and_saveexec_b32 s5, vcc_lo
	s_cbranch_execz .LBB100_4
; %bb.3:                                ;   in Loop: Header=BB100_2 Depth=1
	ds_load_2addr_b64 v[12:15], v7 offset1:1
	s_waitcnt lgkmcnt(0)
	v_add_f64 v[0:1], v[0:1], v[12:13]
	v_add_f64 v[2:3], v[2:3], v[14:15]
.LBB100_4:                              ;   in Loop: Header=BB100_2 Depth=1
	s_or_b32 exec_lo, exec_lo, s5
	; wave barrier
	s_and_saveexec_b32 s5, vcc_lo
	s_cbranch_execz .LBB100_6
; %bb.5:                                ;   in Loop: Header=BB100_2 Depth=1
	ds_store_2addr_b64 v6, v[0:1], v[2:3] offset1:1
.LBB100_6:                              ;   in Loop: Header=BB100_2 Depth=1
	s_or_b32 exec_lo, exec_lo, s5
	; wave barrier
	s_and_saveexec_b32 s5, s0
	s_cbranch_execz .LBB100_8
; %bb.7:                                ;   in Loop: Header=BB100_2 Depth=1
	ds_load_2addr_b64 v[12:15], v8 offset1:1
	s_waitcnt lgkmcnt(0)
	v_add_f64 v[0:1], v[0:1], v[12:13]
	v_add_f64 v[2:3], v[2:3], v[14:15]
.LBB100_8:                              ;   in Loop: Header=BB100_2 Depth=1
	s_or_b32 exec_lo, exec_lo, s5
	; wave barrier
	s_and_saveexec_b32 s5, s0
	s_cbranch_execz .LBB100_10
; %bb.9:                                ;   in Loop: Header=BB100_2 Depth=1
	ds_store_2addr_b64 v6, v[0:1], v[2:3] offset1:1
.LBB100_10:                             ;   in Loop: Header=BB100_2 Depth=1
	s_or_b32 exec_lo, exec_lo, s5
	; wave barrier
	s_and_saveexec_b32 s5, s1
	s_cbranch_execz .LBB100_12
; %bb.11:                               ;   in Loop: Header=BB100_2 Depth=1
	ds_load_2addr_b64 v[12:15], v9 offset1:1
	s_waitcnt lgkmcnt(0)
	v_add_f64 v[0:1], v[0:1], v[12:13]
	v_add_f64 v[2:3], v[2:3], v[14:15]
.LBB100_12:                             ;   in Loop: Header=BB100_2 Depth=1
	s_or_b32 exec_lo, exec_lo, s5
	; wave barrier
	s_and_saveexec_b32 s5, s1
	s_cbranch_execz .LBB100_14
; %bb.13:                               ;   in Loop: Header=BB100_2 Depth=1
	ds_store_2addr_b64 v6, v[0:1], v[2:3] offset1:1
.LBB100_14:                             ;   in Loop: Header=BB100_2 Depth=1
	s_or_b32 exec_lo, exec_lo, s5
	; wave barrier
	s_and_saveexec_b32 s5, s2
	s_cbranch_execz .LBB100_16
; %bb.15:                               ;   in Loop: Header=BB100_2 Depth=1
	ds_load_2addr_b64 v[12:15], v10 offset1:1
	s_waitcnt lgkmcnt(0)
	v_add_f64 v[0:1], v[0:1], v[12:13]
	v_add_f64 v[2:3], v[2:3], v[14:15]
.LBB100_16:                             ;   in Loop: Header=BB100_2 Depth=1
	s_or_b32 exec_lo, exec_lo, s5
	; wave barrier
	s_and_saveexec_b32 s5, s2
	s_cbranch_execz .LBB100_18
; %bb.17:                               ;   in Loop: Header=BB100_2 Depth=1
	ds_store_2addr_b64 v6, v[0:1], v[2:3] offset1:1
.LBB100_18:                             ;   in Loop: Header=BB100_2 Depth=1
	;; [unrolled: 17-line block ×3, first 2 shown]
	s_or_b32 exec_lo, exec_lo, s5
	v_dual_mov_b32 v0, s8 :: v_dual_mov_b32 v1, s9
	v_dual_mov_b32 v2, s10 :: v_dual_mov_b32 v3, s11
	; wave barrier
	s_and_saveexec_b32 s5, vcc_lo
	s_cbranch_execz .LBB100_1
; %bb.23:                               ;   in Loop: Header=BB100_2 Depth=1
	ds_load_2addr_b64 v[0:3], v7 offset1:1
	s_waitcnt lgkmcnt(0)
	v_add_f64 v[0:1], s[8:9], v[0:1]
	v_add_f64 v[2:3], s[10:11], v[2:3]
	s_branch .LBB100_1
.LBB100_24:
	v_add_co_u32 v4, vcc_lo, s6, v4
	v_add_co_ci_u32_e32 v5, vcc_lo, s7, v5, vcc_lo
	global_store_b128 v[4:5], v[0:3], off
	s_nop 0
	s_sendmsg sendmsg(MSG_DEALLOC_VGPRS)
	s_endpgm
	.section	.rodata,"a",@progbits
	.p2align	6, 0x0
	.amdhsa_kernel _Z6kernelI14exclusive_scanN6common11custom_typeIddLb0EEELj31ELj100EEvPKT0_PS4_S4_
		.amdhsa_group_segment_fixed_size 496
		.amdhsa_private_segment_fixed_size 0
		.amdhsa_kernarg_size 288
		.amdhsa_user_sgpr_count 15
		.amdhsa_user_sgpr_dispatch_ptr 0
		.amdhsa_user_sgpr_queue_ptr 0
		.amdhsa_user_sgpr_kernarg_segment_ptr 1
		.amdhsa_user_sgpr_dispatch_id 0
		.amdhsa_user_sgpr_private_segment_size 0
		.amdhsa_wavefront_size32 1
		.amdhsa_uses_dynamic_stack 0
		.amdhsa_enable_private_segment 0
		.amdhsa_system_sgpr_workgroup_id_x 1
		.amdhsa_system_sgpr_workgroup_id_y 0
		.amdhsa_system_sgpr_workgroup_id_z 0
		.amdhsa_system_sgpr_workgroup_info 0
		.amdhsa_system_vgpr_workitem_id 0
		.amdhsa_next_free_vgpr 16
		.amdhsa_next_free_sgpr 16
		.amdhsa_reserve_vcc 1
		.amdhsa_float_round_mode_32 0
		.amdhsa_float_round_mode_16_64 0
		.amdhsa_float_denorm_mode_32 3
		.amdhsa_float_denorm_mode_16_64 3
		.amdhsa_dx10_clamp 1
		.amdhsa_ieee_mode 1
		.amdhsa_fp16_overflow 0
		.amdhsa_workgroup_processor_mode 1
		.amdhsa_memory_ordered 1
		.amdhsa_forward_progress 0
		.amdhsa_shared_vgpr_count 0
		.amdhsa_exception_fp_ieee_invalid_op 0
		.amdhsa_exception_fp_denorm_src 0
		.amdhsa_exception_fp_ieee_div_zero 0
		.amdhsa_exception_fp_ieee_overflow 0
		.amdhsa_exception_fp_ieee_underflow 0
		.amdhsa_exception_fp_ieee_inexact 0
		.amdhsa_exception_int_div_zero 0
	.end_amdhsa_kernel
	.section	.text._Z6kernelI14exclusive_scanN6common11custom_typeIddLb0EEELj31ELj100EEvPKT0_PS4_S4_,"axG",@progbits,_Z6kernelI14exclusive_scanN6common11custom_typeIddLb0EEELj31ELj100EEvPKT0_PS4_S4_,comdat
.Lfunc_end100:
	.size	_Z6kernelI14exclusive_scanN6common11custom_typeIddLb0EEELj31ELj100EEvPKT0_PS4_S4_, .Lfunc_end100-_Z6kernelI14exclusive_scanN6common11custom_typeIddLb0EEELj31ELj100EEvPKT0_PS4_S4_
                                        ; -- End function
	.section	.AMDGPU.csdata,"",@progbits
; Kernel info:
; codeLenInByte = 608
; NumSgprs: 18
; NumVgprs: 16
; ScratchSize: 0
; MemoryBound: 0
; FloatMode: 240
; IeeeMode: 1
; LDSByteSize: 496 bytes/workgroup (compile time only)
; SGPRBlocks: 2
; VGPRBlocks: 1
; NumSGPRsForWavesPerEU: 18
; NumVGPRsForWavesPerEU: 16
; Occupancy: 16
; WaveLimiterHint : 0
; COMPUTE_PGM_RSRC2:SCRATCH_EN: 0
; COMPUTE_PGM_RSRC2:USER_SGPR: 15
; COMPUTE_PGM_RSRC2:TRAP_HANDLER: 0
; COMPUTE_PGM_RSRC2:TGID_X_EN: 1
; COMPUTE_PGM_RSRC2:TGID_Y_EN: 0
; COMPUTE_PGM_RSRC2:TGID_Z_EN: 0
; COMPUTE_PGM_RSRC2:TIDIG_COMP_CNT: 0
	.section	.text._Z6kernelI14exclusive_scanN6common11custom_typeIddLb0EEELj15ELj100EEvPKT0_PS4_S4_,"axG",@progbits,_Z6kernelI14exclusive_scanN6common11custom_typeIddLb0EEELj15ELj100EEvPKT0_PS4_S4_,comdat
	.protected	_Z6kernelI14exclusive_scanN6common11custom_typeIddLb0EEELj15ELj100EEvPKT0_PS4_S4_ ; -- Begin function _Z6kernelI14exclusive_scanN6common11custom_typeIddLb0EEELj15ELj100EEvPKT0_PS4_S4_
	.globl	_Z6kernelI14exclusive_scanN6common11custom_typeIddLb0EEELj15ELj100EEvPKT0_PS4_S4_
	.p2align	8
	.type	_Z6kernelI14exclusive_scanN6common11custom_typeIddLb0EEELj15ELj100EEvPKT0_PS4_S4_,@function
_Z6kernelI14exclusive_scanN6common11custom_typeIddLb0EEELj15ELj100EEvPKT0_PS4_S4_: ; @_Z6kernelI14exclusive_scanN6common11custom_typeIddLb0EEELj15ELj100EEvPKT0_PS4_S4_
; %bb.0:
	s_clause 0x1
	s_load_b32 s2, s[0:1], 0x2c
	s_load_b256 s[4:11], s[0:1], 0x0
	v_mbcnt_lo_u32_b32 v6, -1, 0
	s_movk_i32 s3, 0x64
	s_delay_alu instid0(VALU_DEP_1) | instskip(NEXT) | instid1(VALU_DEP_1)
	v_mul_hi_u32 v7, 0x11111112, v6
	v_mul_u32_u24_e32 v7, 15, v7
	s_delay_alu instid0(VALU_DEP_1) | instskip(SKIP_2) | instid1(SALU_CYCLE_1)
	v_sub_nc_u32_e32 v7, v6, v7
	s_waitcnt lgkmcnt(0)
	s_and_b32 s0, s2, 0xffff
	v_mad_u64_u32 v[1:2], null, s15, s0, v[0:1]
	s_delay_alu instid0(VALU_DEP_2)
	v_lshlrev_b32_e32 v6, 4, v7
	v_mov_b32_e32 v2, 0
	v_cmp_lt_u32_e64 s0, 1, v7
	v_cmp_lt_u32_e64 s1, 3, v7
	;; [unrolled: 1-line block ×3, first 2 shown]
	v_subrev_nc_u32_e32 v8, 32, v6
	v_lshlrev_b64 v[4:5], 4, v[1:2]
	v_subrev_nc_u32_e32 v9, 64, v6
	v_add_nc_u32_e32 v10, 0xffffff80, v6
	s_delay_alu instid0(VALU_DEP_3) | instskip(NEXT) | instid1(VALU_DEP_4)
	v_add_co_u32 v0, vcc_lo, s4, v4
	v_add_co_ci_u32_e32 v1, vcc_lo, s5, v5, vcc_lo
	v_cmp_ne_u32_e32 vcc_lo, 0, v7
	v_add_nc_u32_e32 v7, -16, v6
	global_load_b128 v[0:3], v[0:1], off
	s_branch .LBB101_2
.LBB101_1:                              ;   in Loop: Header=BB101_2 Depth=1
	s_or_b32 exec_lo, exec_lo, s4
	s_add_i32 s3, s3, -1
	s_delay_alu instid0(SALU_CYCLE_1)
	s_cmp_lg_u32 s3, 0
	s_cbranch_scc0 .LBB101_20
.LBB101_2:                              ; =>This Inner Loop Header: Depth=1
	s_waitcnt vmcnt(0)
	ds_store_2addr_b64 v6, v[0:1], v[2:3] offset1:1
	; wave barrier
	s_and_saveexec_b32 s4, vcc_lo
	s_cbranch_execz .LBB101_4
; %bb.3:                                ;   in Loop: Header=BB101_2 Depth=1
	ds_load_2addr_b64 v[11:14], v7 offset1:1
	s_waitcnt lgkmcnt(0)
	v_add_f64 v[0:1], v[0:1], v[11:12]
	v_add_f64 v[2:3], v[2:3], v[13:14]
.LBB101_4:                              ;   in Loop: Header=BB101_2 Depth=1
	s_or_b32 exec_lo, exec_lo, s4
	; wave barrier
	s_and_saveexec_b32 s4, vcc_lo
	s_cbranch_execz .LBB101_6
; %bb.5:                                ;   in Loop: Header=BB101_2 Depth=1
	ds_store_2addr_b64 v6, v[0:1], v[2:3] offset1:1
.LBB101_6:                              ;   in Loop: Header=BB101_2 Depth=1
	s_or_b32 exec_lo, exec_lo, s4
	; wave barrier
	s_and_saveexec_b32 s4, s0
	s_cbranch_execz .LBB101_8
; %bb.7:                                ;   in Loop: Header=BB101_2 Depth=1
	ds_load_2addr_b64 v[11:14], v8 offset1:1
	s_waitcnt lgkmcnt(0)
	v_add_f64 v[0:1], v[0:1], v[11:12]
	v_add_f64 v[2:3], v[2:3], v[13:14]
.LBB101_8:                              ;   in Loop: Header=BB101_2 Depth=1
	s_or_b32 exec_lo, exec_lo, s4
	; wave barrier
	s_and_saveexec_b32 s4, s0
	s_cbranch_execz .LBB101_10
; %bb.9:                                ;   in Loop: Header=BB101_2 Depth=1
	ds_store_2addr_b64 v6, v[0:1], v[2:3] offset1:1
.LBB101_10:                             ;   in Loop: Header=BB101_2 Depth=1
	s_or_b32 exec_lo, exec_lo, s4
	; wave barrier
	s_and_saveexec_b32 s4, s1
	s_cbranch_execz .LBB101_12
; %bb.11:                               ;   in Loop: Header=BB101_2 Depth=1
	ds_load_2addr_b64 v[11:14], v9 offset1:1
	s_waitcnt lgkmcnt(0)
	v_add_f64 v[0:1], v[0:1], v[11:12]
	v_add_f64 v[2:3], v[2:3], v[13:14]
.LBB101_12:                             ;   in Loop: Header=BB101_2 Depth=1
	s_or_b32 exec_lo, exec_lo, s4
	; wave barrier
	s_and_saveexec_b32 s4, s1
	s_cbranch_execz .LBB101_14
; %bb.13:                               ;   in Loop: Header=BB101_2 Depth=1
	ds_store_2addr_b64 v6, v[0:1], v[2:3] offset1:1
.LBB101_14:                             ;   in Loop: Header=BB101_2 Depth=1
	s_or_b32 exec_lo, exec_lo, s4
	; wave barrier
	s_and_saveexec_b32 s4, s2
	s_cbranch_execz .LBB101_16
; %bb.15:                               ;   in Loop: Header=BB101_2 Depth=1
	ds_load_2addr_b64 v[11:14], v10 offset1:1
	s_waitcnt lgkmcnt(0)
	v_add_f64 v[0:1], v[0:1], v[11:12]
	v_add_f64 v[2:3], v[2:3], v[13:14]
.LBB101_16:                             ;   in Loop: Header=BB101_2 Depth=1
	s_or_b32 exec_lo, exec_lo, s4
	; wave barrier
	s_and_saveexec_b32 s4, s2
	s_cbranch_execz .LBB101_18
; %bb.17:                               ;   in Loop: Header=BB101_2 Depth=1
	ds_store_2addr_b64 v6, v[0:1], v[2:3] offset1:1
.LBB101_18:                             ;   in Loop: Header=BB101_2 Depth=1
	s_or_b32 exec_lo, exec_lo, s4
	v_dual_mov_b32 v0, s8 :: v_dual_mov_b32 v1, s9
	v_dual_mov_b32 v2, s10 :: v_dual_mov_b32 v3, s11
	; wave barrier
	s_and_saveexec_b32 s4, vcc_lo
	s_cbranch_execz .LBB101_1
; %bb.19:                               ;   in Loop: Header=BB101_2 Depth=1
	ds_load_2addr_b64 v[0:3], v7 offset1:1
	s_waitcnt lgkmcnt(0)
	v_add_f64 v[0:1], s[8:9], v[0:1]
	v_add_f64 v[2:3], s[10:11], v[2:3]
	s_branch .LBB101_1
.LBB101_20:
	v_add_co_u32 v4, vcc_lo, s6, v4
	v_add_co_ci_u32_e32 v5, vcc_lo, s7, v5, vcc_lo
	global_store_b128 v[4:5], v[0:3], off
	s_nop 0
	s_sendmsg sendmsg(MSG_DEALLOC_VGPRS)
	s_endpgm
	.section	.rodata,"a",@progbits
	.p2align	6, 0x0
	.amdhsa_kernel _Z6kernelI14exclusive_scanN6common11custom_typeIddLb0EEELj15ELj100EEvPKT0_PS4_S4_
		.amdhsa_group_segment_fixed_size 240
		.amdhsa_private_segment_fixed_size 0
		.amdhsa_kernarg_size 288
		.amdhsa_user_sgpr_count 15
		.amdhsa_user_sgpr_dispatch_ptr 0
		.amdhsa_user_sgpr_queue_ptr 0
		.amdhsa_user_sgpr_kernarg_segment_ptr 1
		.amdhsa_user_sgpr_dispatch_id 0
		.amdhsa_user_sgpr_private_segment_size 0
		.amdhsa_wavefront_size32 1
		.amdhsa_uses_dynamic_stack 0
		.amdhsa_enable_private_segment 0
		.amdhsa_system_sgpr_workgroup_id_x 1
		.amdhsa_system_sgpr_workgroup_id_y 0
		.amdhsa_system_sgpr_workgroup_id_z 0
		.amdhsa_system_sgpr_workgroup_info 0
		.amdhsa_system_vgpr_workitem_id 0
		.amdhsa_next_free_vgpr 15
		.amdhsa_next_free_sgpr 16
		.amdhsa_reserve_vcc 1
		.amdhsa_float_round_mode_32 0
		.amdhsa_float_round_mode_16_64 0
		.amdhsa_float_denorm_mode_32 3
		.amdhsa_float_denorm_mode_16_64 3
		.amdhsa_dx10_clamp 1
		.amdhsa_ieee_mode 1
		.amdhsa_fp16_overflow 0
		.amdhsa_workgroup_processor_mode 1
		.amdhsa_memory_ordered 1
		.amdhsa_forward_progress 0
		.amdhsa_shared_vgpr_count 0
		.amdhsa_exception_fp_ieee_invalid_op 0
		.amdhsa_exception_fp_denorm_src 0
		.amdhsa_exception_fp_ieee_div_zero 0
		.amdhsa_exception_fp_ieee_overflow 0
		.amdhsa_exception_fp_ieee_underflow 0
		.amdhsa_exception_fp_ieee_inexact 0
		.amdhsa_exception_int_div_zero 0
	.end_amdhsa_kernel
	.section	.text._Z6kernelI14exclusive_scanN6common11custom_typeIddLb0EEELj15ELj100EEvPKT0_PS4_S4_,"axG",@progbits,_Z6kernelI14exclusive_scanN6common11custom_typeIddLb0EEELj15ELj100EEvPKT0_PS4_S4_,comdat
.Lfunc_end101:
	.size	_Z6kernelI14exclusive_scanN6common11custom_typeIddLb0EEELj15ELj100EEvPKT0_PS4_S4_, .Lfunc_end101-_Z6kernelI14exclusive_scanN6common11custom_typeIddLb0EEELj15ELj100EEvPKT0_PS4_S4_
                                        ; -- End function
	.section	.AMDGPU.csdata,"",@progbits
; Kernel info:
; codeLenInByte = 536
; NumSgprs: 18
; NumVgprs: 15
; ScratchSize: 0
; MemoryBound: 0
; FloatMode: 240
; IeeeMode: 1
; LDSByteSize: 240 bytes/workgroup (compile time only)
; SGPRBlocks: 2
; VGPRBlocks: 1
; NumSGPRsForWavesPerEU: 18
; NumVGPRsForWavesPerEU: 15
; Occupancy: 16
; WaveLimiterHint : 0
; COMPUTE_PGM_RSRC2:SCRATCH_EN: 0
; COMPUTE_PGM_RSRC2:USER_SGPR: 15
; COMPUTE_PGM_RSRC2:TRAP_HANDLER: 0
; COMPUTE_PGM_RSRC2:TGID_X_EN: 1
; COMPUTE_PGM_RSRC2:TGID_Y_EN: 0
; COMPUTE_PGM_RSRC2:TGID_Z_EN: 0
; COMPUTE_PGM_RSRC2:TIDIG_COMP_CNT: 0
	.section	.text._Z6kernelI14exclusive_scanN6common11custom_typeIidLb0EEELj64ELj100EEvPKT0_PS4_S4_,"axG",@progbits,_Z6kernelI14exclusive_scanN6common11custom_typeIidLb0EEELj64ELj100EEvPKT0_PS4_S4_,comdat
	.protected	_Z6kernelI14exclusive_scanN6common11custom_typeIidLb0EEELj64ELj100EEvPKT0_PS4_S4_ ; -- Begin function _Z6kernelI14exclusive_scanN6common11custom_typeIidLb0EEELj64ELj100EEvPKT0_PS4_S4_
	.globl	_Z6kernelI14exclusive_scanN6common11custom_typeIidLb0EEELj64ELj100EEvPKT0_PS4_S4_
	.p2align	8
	.type	_Z6kernelI14exclusive_scanN6common11custom_typeIidLb0EEELj64ELj100EEvPKT0_PS4_S4_,@function
_Z6kernelI14exclusive_scanN6common11custom_typeIidLb0EEELj64ELj100EEvPKT0_PS4_S4_: ; @_Z6kernelI14exclusive_scanN6common11custom_typeIidLb0EEELj64ELj100EEvPKT0_PS4_S4_
; %bb.0:
	s_clause 0x1
	s_load_b32 s4, s[0:1], 0x2c
	s_load_b128 s[0:3], s[0:1], 0x0
	s_waitcnt lgkmcnt(0)
	s_and_b32 s4, s4, 0xffff
	s_delay_alu instid0(SALU_CYCLE_1) | instskip(SKIP_1) | instid1(VALU_DEP_1)
	v_mad_u64_u32 v[1:2], null, s15, s4, v[0:1]
	v_mov_b32_e32 v2, 0
	v_lshlrev_b64 v[0:1], 4, v[1:2]
	s_delay_alu instid0(VALU_DEP_1) | instskip(NEXT) | instid1(VALU_DEP_2)
	v_add_co_u32 v2, vcc_lo, s0, v0
	v_add_co_ci_u32_e32 v3, vcc_lo, s1, v1, vcc_lo
	v_add_co_u32 v0, vcc_lo, s2, v0
	v_add_co_ci_u32_e32 v1, vcc_lo, s3, v1, vcc_lo
	s_clause 0x1
	global_load_b32 v4, v[2:3], off
	global_load_b64 v[2:3], v[2:3], off offset:8
	s_waitcnt vmcnt(1)
	global_store_b32 v[0:1], v4, off
	s_waitcnt vmcnt(0)
	global_store_b64 v[0:1], v[2:3], off offset:8
	s_nop 0
	s_sendmsg sendmsg(MSG_DEALLOC_VGPRS)
	s_endpgm
	.section	.rodata,"a",@progbits
	.p2align	6, 0x0
	.amdhsa_kernel _Z6kernelI14exclusive_scanN6common11custom_typeIidLb0EEELj64ELj100EEvPKT0_PS4_S4_
		.amdhsa_group_segment_fixed_size 0
		.amdhsa_private_segment_fixed_size 0
		.amdhsa_kernarg_size 288
		.amdhsa_user_sgpr_count 15
		.amdhsa_user_sgpr_dispatch_ptr 0
		.amdhsa_user_sgpr_queue_ptr 0
		.amdhsa_user_sgpr_kernarg_segment_ptr 1
		.amdhsa_user_sgpr_dispatch_id 0
		.amdhsa_user_sgpr_private_segment_size 0
		.amdhsa_wavefront_size32 1
		.amdhsa_uses_dynamic_stack 0
		.amdhsa_enable_private_segment 0
		.amdhsa_system_sgpr_workgroup_id_x 1
		.amdhsa_system_sgpr_workgroup_id_y 0
		.amdhsa_system_sgpr_workgroup_id_z 0
		.amdhsa_system_sgpr_workgroup_info 0
		.amdhsa_system_vgpr_workitem_id 0
		.amdhsa_next_free_vgpr 5
		.amdhsa_next_free_sgpr 16
		.amdhsa_reserve_vcc 1
		.amdhsa_float_round_mode_32 0
		.amdhsa_float_round_mode_16_64 0
		.amdhsa_float_denorm_mode_32 3
		.amdhsa_float_denorm_mode_16_64 3
		.amdhsa_dx10_clamp 1
		.amdhsa_ieee_mode 1
		.amdhsa_fp16_overflow 0
		.amdhsa_workgroup_processor_mode 1
		.amdhsa_memory_ordered 1
		.amdhsa_forward_progress 0
		.amdhsa_shared_vgpr_count 0
		.amdhsa_exception_fp_ieee_invalid_op 0
		.amdhsa_exception_fp_denorm_src 0
		.amdhsa_exception_fp_ieee_div_zero 0
		.amdhsa_exception_fp_ieee_overflow 0
		.amdhsa_exception_fp_ieee_underflow 0
		.amdhsa_exception_fp_ieee_inexact 0
		.amdhsa_exception_int_div_zero 0
	.end_amdhsa_kernel
	.section	.text._Z6kernelI14exclusive_scanN6common11custom_typeIidLb0EEELj64ELj100EEvPKT0_PS4_S4_,"axG",@progbits,_Z6kernelI14exclusive_scanN6common11custom_typeIidLb0EEELj64ELj100EEvPKT0_PS4_S4_,comdat
.Lfunc_end102:
	.size	_Z6kernelI14exclusive_scanN6common11custom_typeIidLb0EEELj64ELj100EEvPKT0_PS4_S4_, .Lfunc_end102-_Z6kernelI14exclusive_scanN6common11custom_typeIidLb0EEELj64ELj100EEvPKT0_PS4_S4_
                                        ; -- End function
	.section	.AMDGPU.csdata,"",@progbits
; Kernel info:
; codeLenInByte = 140
; NumSgprs: 18
; NumVgprs: 5
; ScratchSize: 0
; MemoryBound: 0
; FloatMode: 240
; IeeeMode: 1
; LDSByteSize: 0 bytes/workgroup (compile time only)
; SGPRBlocks: 2
; VGPRBlocks: 0
; NumSGPRsForWavesPerEU: 18
; NumVGPRsForWavesPerEU: 5
; Occupancy: 16
; WaveLimiterHint : 0
; COMPUTE_PGM_RSRC2:SCRATCH_EN: 0
; COMPUTE_PGM_RSRC2:USER_SGPR: 15
; COMPUTE_PGM_RSRC2:TRAP_HANDLER: 0
; COMPUTE_PGM_RSRC2:TGID_X_EN: 1
; COMPUTE_PGM_RSRC2:TGID_Y_EN: 0
; COMPUTE_PGM_RSRC2:TGID_Z_EN: 0
; COMPUTE_PGM_RSRC2:TIDIG_COMP_CNT: 0
	.section	.text._Z6kernelI14exclusive_scanN6common11custom_typeIidLb0EEELj32ELj100EEvPKT0_PS4_S4_,"axG",@progbits,_Z6kernelI14exclusive_scanN6common11custom_typeIidLb0EEELj32ELj100EEvPKT0_PS4_S4_,comdat
	.protected	_Z6kernelI14exclusive_scanN6common11custom_typeIidLb0EEELj32ELj100EEvPKT0_PS4_S4_ ; -- Begin function _Z6kernelI14exclusive_scanN6common11custom_typeIidLb0EEELj32ELj100EEvPKT0_PS4_S4_
	.globl	_Z6kernelI14exclusive_scanN6common11custom_typeIidLb0EEELj32ELj100EEvPKT0_PS4_S4_
	.p2align	8
	.type	_Z6kernelI14exclusive_scanN6common11custom_typeIidLb0EEELj32ELj100EEvPKT0_PS4_S4_,@function
_Z6kernelI14exclusive_scanN6common11custom_typeIidLb0EEELj32ELj100EEvPKT0_PS4_S4_: ; @_Z6kernelI14exclusive_scanN6common11custom_typeIidLb0EEELj32ELj100EEvPKT0_PS4_S4_
; %bb.0:
	s_clause 0x1
	s_load_b32 s2, s[0:1], 0x2c
	s_load_b128 s[4:7], s[0:1], 0x0
	v_mbcnt_lo_u32_b32 v4, -1, 0
	s_clause 0x1
	s_load_b32 s10, s[0:1], 0x10
	s_load_b64 s[8:9], s[0:1], 0x18
	s_delay_alu instid0(VALU_DEP_1) | instskip(SKIP_2) | instid1(VALU_DEP_3)
	v_add_nc_u32_e32 v7, -1, v4
	v_and_b32_e32 v8, 16, v4
	v_and_b32_e32 v5, 15, v4
	v_cmp_gt_i32_e64 s0, 0, v7
	s_delay_alu instid0(VALU_DEP_3) | instskip(NEXT) | instid1(VALU_DEP_3)
	v_cmp_ne_u32_e64 s3, 0, v8
	v_cmp_lt_u32_e64 s1, 3, v5
	s_delay_alu instid0(VALU_DEP_3) | instskip(SKIP_3) | instid1(SALU_CYCLE_1)
	v_cndmask_b32_e64 v7, v7, v4, s0
	v_cmp_lt_u32_e64 s0, 1, v5
	s_waitcnt lgkmcnt(0)
	s_and_b32 s2, s2, 0xffff
	v_mad_u64_u32 v[1:2], null, s15, s2, v[0:1]
	v_mov_b32_e32 v2, 0
	v_cmp_lt_u32_e64 s2, 7, v5
	v_lshlrev_b32_e32 v7, 2, v7
	s_delay_alu instid0(VALU_DEP_3) | instskip(NEXT) | instid1(VALU_DEP_1)
	v_lshlrev_b64 v[0:1], 4, v[1:2]
	v_add_co_u32 v2, vcc_lo, s4, v0
	s_delay_alu instid0(VALU_DEP_2)
	v_add_co_ci_u32_e32 v3, vcc_lo, s5, v1, vcc_lo
	v_cmp_ne_u32_e32 vcc_lo, 0, v5
	v_cmp_eq_u32_e64 s4, 0, v4
	s_movk_i32 s5, 0x64
	s_clause 0x1
	global_load_b32 v6, v[2:3], off
	global_load_b64 v[2:3], v[2:3], off offset:8
	s_branch .LBB103_2
.LBB103_1:                              ;   in Loop: Header=BB103_2 Depth=1
	s_or_b32 exec_lo, exec_lo, s11
	s_delay_alu instid0(VALU_DEP_2) | instskip(SKIP_3) | instid1(SALU_CYCLE_1)
	v_add_f64 v[2:3], s[8:9], v[2:3]
	s_waitcnt lgkmcnt(1)
	v_add_nc_u32_e32 v4, s10, v6
	s_add_i32 s5, s5, -1
	s_cmp_lg_u32 s5, 0
	ds_bpermute_b32 v4, v7, v4
	s_waitcnt lgkmcnt(0)
	v_cndmask_b32_e64 v6, v4, s10, s4
	ds_bpermute_b32 v3, v7, v3
	ds_bpermute_b32 v2, v7, v2
	s_waitcnt lgkmcnt(1)
	v_cndmask_b32_e64 v3, v3, s9, s4
	s_waitcnt lgkmcnt(0)
	v_cndmask_b32_e64 v2, v2, s8, s4
	s_cbranch_scc0 .LBB103_12
.LBB103_2:                              ; =>This Inner Loop Header: Depth=1
	s_waitcnt vmcnt(1)
	v_mov_b32_dpp v8, v6 row_shr:1 row_mask:0xf bank_mask:0xf
	s_waitcnt vmcnt(0)
	v_mov_b32_dpp v4, v2 row_shr:1 row_mask:0xf bank_mask:0xf
	v_mov_b32_dpp v5, v3 row_shr:1 row_mask:0xf bank_mask:0xf
	s_and_saveexec_b32 s11, vcc_lo
; %bb.3:                                ;   in Loop: Header=BB103_2 Depth=1
	s_delay_alu instid0(VALU_DEP_1)
	v_add_f64 v[2:3], v[2:3], v[4:5]
	v_add_nc_u32_e32 v6, v8, v6
; %bb.4:                                ;   in Loop: Header=BB103_2 Depth=1
	s_or_b32 exec_lo, exec_lo, s11
	s_delay_alu instid0(VALU_DEP_1) | instskip(NEXT) | instid1(VALU_DEP_3)
	v_mov_b32_dpp v8, v6 row_shr:2 row_mask:0xf bank_mask:0xf
	v_mov_b32_dpp v4, v2 row_shr:2 row_mask:0xf bank_mask:0xf
	s_delay_alu instid0(VALU_DEP_4)
	v_mov_b32_dpp v5, v3 row_shr:2 row_mask:0xf bank_mask:0xf
	s_and_saveexec_b32 s11, s0
; %bb.5:                                ;   in Loop: Header=BB103_2 Depth=1
	s_delay_alu instid0(VALU_DEP_1)
	v_add_f64 v[2:3], v[2:3], v[4:5]
	v_add_nc_u32_e32 v6, v8, v6
; %bb.6:                                ;   in Loop: Header=BB103_2 Depth=1
	s_or_b32 exec_lo, exec_lo, s11
	s_delay_alu instid0(VALU_DEP_1) | instskip(NEXT) | instid1(VALU_DEP_3)
	v_mov_b32_dpp v8, v6 row_shr:4 row_mask:0xf bank_mask:0xf
	v_mov_b32_dpp v4, v2 row_shr:4 row_mask:0xf bank_mask:0xf
	s_delay_alu instid0(VALU_DEP_4)
	v_mov_b32_dpp v5, v3 row_shr:4 row_mask:0xf bank_mask:0xf
	s_and_saveexec_b32 s11, s1
	;; [unrolled: 12-line block ×3, first 2 shown]
; %bb.9:                                ;   in Loop: Header=BB103_2 Depth=1
	s_delay_alu instid0(VALU_DEP_1)
	v_add_f64 v[2:3], v[2:3], v[4:5]
	v_add_nc_u32_e32 v6, v8, v6
; %bb.10:                               ;   in Loop: Header=BB103_2 Depth=1
	s_or_b32 exec_lo, exec_lo, s11
	ds_swizzle_b32 v8, v6 offset:swizzle(BROADCAST,32,15)
	ds_swizzle_b32 v4, v2 offset:swizzle(BROADCAST,32,15)
	;; [unrolled: 1-line block ×3, first 2 shown]
	s_and_saveexec_b32 s11, s3
	s_cbranch_execz .LBB103_1
; %bb.11:                               ;   in Loop: Header=BB103_2 Depth=1
	s_waitcnt lgkmcnt(0)
	v_add_f64 v[2:3], v[2:3], v[4:5]
	v_add_nc_u32_e32 v6, v8, v6
	s_branch .LBB103_1
.LBB103_12:
	v_add_co_u32 v0, vcc_lo, s6, v0
	v_add_co_ci_u32_e32 v1, vcc_lo, s7, v1, vcc_lo
	s_clause 0x1
	global_store_b32 v[0:1], v6, off
	global_store_b64 v[0:1], v[2:3], off offset:8
	s_nop 0
	s_sendmsg sendmsg(MSG_DEALLOC_VGPRS)
	s_endpgm
	.section	.rodata,"a",@progbits
	.p2align	6, 0x0
	.amdhsa_kernel _Z6kernelI14exclusive_scanN6common11custom_typeIidLb0EEELj32ELj100EEvPKT0_PS4_S4_
		.amdhsa_group_segment_fixed_size 0
		.amdhsa_private_segment_fixed_size 0
		.amdhsa_kernarg_size 288
		.amdhsa_user_sgpr_count 15
		.amdhsa_user_sgpr_dispatch_ptr 0
		.amdhsa_user_sgpr_queue_ptr 0
		.amdhsa_user_sgpr_kernarg_segment_ptr 1
		.amdhsa_user_sgpr_dispatch_id 0
		.amdhsa_user_sgpr_private_segment_size 0
		.amdhsa_wavefront_size32 1
		.amdhsa_uses_dynamic_stack 0
		.amdhsa_enable_private_segment 0
		.amdhsa_system_sgpr_workgroup_id_x 1
		.amdhsa_system_sgpr_workgroup_id_y 0
		.amdhsa_system_sgpr_workgroup_id_z 0
		.amdhsa_system_sgpr_workgroup_info 0
		.amdhsa_system_vgpr_workitem_id 0
		.amdhsa_next_free_vgpr 9
		.amdhsa_next_free_sgpr 16
		.amdhsa_reserve_vcc 1
		.amdhsa_float_round_mode_32 0
		.amdhsa_float_round_mode_16_64 0
		.amdhsa_float_denorm_mode_32 3
		.amdhsa_float_denorm_mode_16_64 3
		.amdhsa_dx10_clamp 1
		.amdhsa_ieee_mode 1
		.amdhsa_fp16_overflow 0
		.amdhsa_workgroup_processor_mode 1
		.amdhsa_memory_ordered 1
		.amdhsa_forward_progress 0
		.amdhsa_shared_vgpr_count 0
		.amdhsa_exception_fp_ieee_invalid_op 0
		.amdhsa_exception_fp_denorm_src 0
		.amdhsa_exception_fp_ieee_div_zero 0
		.amdhsa_exception_fp_ieee_overflow 0
		.amdhsa_exception_fp_ieee_underflow 0
		.amdhsa_exception_fp_ieee_inexact 0
		.amdhsa_exception_int_div_zero 0
	.end_amdhsa_kernel
	.section	.text._Z6kernelI14exclusive_scanN6common11custom_typeIidLb0EEELj32ELj100EEvPKT0_PS4_S4_,"axG",@progbits,_Z6kernelI14exclusive_scanN6common11custom_typeIidLb0EEELj32ELj100EEvPKT0_PS4_S4_,comdat
.Lfunc_end103:
	.size	_Z6kernelI14exclusive_scanN6common11custom_typeIidLb0EEELj32ELj100EEvPKT0_PS4_S4_, .Lfunc_end103-_Z6kernelI14exclusive_scanN6common11custom_typeIidLb0EEELj32ELj100EEvPKT0_PS4_S4_
                                        ; -- End function
	.section	.AMDGPU.csdata,"",@progbits
; Kernel info:
; codeLenInByte = 632
; NumSgprs: 18
; NumVgprs: 9
; ScratchSize: 0
; MemoryBound: 0
; FloatMode: 240
; IeeeMode: 1
; LDSByteSize: 0 bytes/workgroup (compile time only)
; SGPRBlocks: 2
; VGPRBlocks: 1
; NumSGPRsForWavesPerEU: 18
; NumVGPRsForWavesPerEU: 9
; Occupancy: 16
; WaveLimiterHint : 0
; COMPUTE_PGM_RSRC2:SCRATCH_EN: 0
; COMPUTE_PGM_RSRC2:USER_SGPR: 15
; COMPUTE_PGM_RSRC2:TRAP_HANDLER: 0
; COMPUTE_PGM_RSRC2:TGID_X_EN: 1
; COMPUTE_PGM_RSRC2:TGID_Y_EN: 0
; COMPUTE_PGM_RSRC2:TGID_Z_EN: 0
; COMPUTE_PGM_RSRC2:TIDIG_COMP_CNT: 0
	.section	.text._Z6kernelI14exclusive_scanN6common11custom_typeIidLb0EEELj16ELj100EEvPKT0_PS4_S4_,"axG",@progbits,_Z6kernelI14exclusive_scanN6common11custom_typeIidLb0EEELj16ELj100EEvPKT0_PS4_S4_,comdat
	.protected	_Z6kernelI14exclusive_scanN6common11custom_typeIidLb0EEELj16ELj100EEvPKT0_PS4_S4_ ; -- Begin function _Z6kernelI14exclusive_scanN6common11custom_typeIidLb0EEELj16ELj100EEvPKT0_PS4_S4_
	.globl	_Z6kernelI14exclusive_scanN6common11custom_typeIidLb0EEELj16ELj100EEvPKT0_PS4_S4_
	.p2align	8
	.type	_Z6kernelI14exclusive_scanN6common11custom_typeIidLb0EEELj16ELj100EEvPKT0_PS4_S4_,@function
_Z6kernelI14exclusive_scanN6common11custom_typeIidLb0EEELj16ELj100EEvPKT0_PS4_S4_: ; @_Z6kernelI14exclusive_scanN6common11custom_typeIidLb0EEELj16ELj100EEvPKT0_PS4_S4_
; %bb.0:
	s_clause 0x1
	s_load_b32 s2, s[0:1], 0x2c
	s_load_b128 s[4:7], s[0:1], 0x0
	v_mbcnt_lo_u32_b32 v4, -1, 0
	s_load_b32 s8, s[0:1], 0x10
	s_movk_i32 s9, 0x64
	s_delay_alu instid0(VALU_DEP_1) | instskip(SKIP_2) | instid1(VALU_DEP_1)
	v_add_nc_u32_e32 v7, -1, v4
	v_and_b32_e32 v8, 16, v4
	v_and_b32_e32 v5, 15, v4
	v_cmp_lt_u32_e64 s3, 7, v5
	s_waitcnt lgkmcnt(0)
	s_and_b32 s2, s2, 0xffff
	s_delay_alu instid0(SALU_CYCLE_1) | instskip(SKIP_2) | instid1(VALU_DEP_2)
	v_mad_u64_u32 v[1:2], null, s15, s2, v[0:1]
	v_mov_b32_e32 v2, 0
	v_cmp_lt_u32_e64 s2, 3, v5
	v_lshlrev_b64 v[0:1], 4, v[1:2]
	s_delay_alu instid0(VALU_DEP_1) | instskip(NEXT) | instid1(VALU_DEP_2)
	v_add_co_u32 v2, vcc_lo, s4, v0
	v_add_co_ci_u32_e32 v3, vcc_lo, s5, v1, vcc_lo
	s_load_b64 s[4:5], s[0:1], 0x18
	v_cmp_lt_i32_e64 s0, v7, v8
	v_cmp_eq_u32_e32 vcc_lo, 0, v5
	s_clause 0x1
	global_load_b32 v6, v[2:3], off
	global_load_b64 v[2:3], v[2:3], off offset:8
	v_cmp_lt_u32_e64 s1, 1, v5
	v_cndmask_b32_e64 v4, v7, v4, s0
	v_cmp_ne_u32_e64 s0, 0, v5
	s_delay_alu instid0(VALU_DEP_2)
	v_lshlrev_b32_e32 v7, 2, v4
	s_branch .LBB104_2
.LBB104_1:                              ;   in Loop: Header=BB104_2 Depth=1
	s_or_b32 exec_lo, exec_lo, s10
	s_waitcnt lgkmcnt(0)
	s_delay_alu instid0(VALU_DEP_2) | instskip(SKIP_2) | instid1(SALU_CYCLE_1)
	v_add_f64 v[2:3], s[4:5], v[2:3]
	v_add_nc_u32_e32 v4, s8, v6
	s_add_i32 s9, s9, -1
	s_cmp_lg_u32 s9, 0
	ds_bpermute_b32 v4, v7, v4
	s_waitcnt lgkmcnt(0)
	v_cndmask_b32_e64 v6, v4, s8, vcc_lo
	ds_bpermute_b32 v3, v7, v3
	ds_bpermute_b32 v2, v7, v2
	s_waitcnt lgkmcnt(1)
	v_cndmask_b32_e64 v3, v3, s5, vcc_lo
	s_waitcnt lgkmcnt(0)
	v_cndmask_b32_e64 v2, v2, s4, vcc_lo
	s_cbranch_scc0 .LBB104_10
.LBB104_2:                              ; =>This Inner Loop Header: Depth=1
	s_waitcnt vmcnt(1)
	v_mov_b32_dpp v8, v6 row_shr:1 row_mask:0xf bank_mask:0xf
	s_waitcnt vmcnt(0)
	v_mov_b32_dpp v4, v2 row_shr:1 row_mask:0xf bank_mask:0xf
	v_mov_b32_dpp v5, v3 row_shr:1 row_mask:0xf bank_mask:0xf
	s_and_saveexec_b32 s10, s0
; %bb.3:                                ;   in Loop: Header=BB104_2 Depth=1
	s_delay_alu instid0(VALU_DEP_1)
	v_add_f64 v[2:3], v[2:3], v[4:5]
	v_add_nc_u32_e32 v6, v8, v6
; %bb.4:                                ;   in Loop: Header=BB104_2 Depth=1
	s_or_b32 exec_lo, exec_lo, s10
	s_delay_alu instid0(VALU_DEP_1) | instskip(NEXT) | instid1(VALU_DEP_3)
	v_mov_b32_dpp v8, v6 row_shr:2 row_mask:0xf bank_mask:0xf
	v_mov_b32_dpp v4, v2 row_shr:2 row_mask:0xf bank_mask:0xf
	s_delay_alu instid0(VALU_DEP_4)
	v_mov_b32_dpp v5, v3 row_shr:2 row_mask:0xf bank_mask:0xf
	s_and_saveexec_b32 s10, s1
; %bb.5:                                ;   in Loop: Header=BB104_2 Depth=1
	s_delay_alu instid0(VALU_DEP_1)
	v_add_f64 v[2:3], v[2:3], v[4:5]
	v_add_nc_u32_e32 v6, v8, v6
; %bb.6:                                ;   in Loop: Header=BB104_2 Depth=1
	s_or_b32 exec_lo, exec_lo, s10
	s_delay_alu instid0(VALU_DEP_1) | instskip(NEXT) | instid1(VALU_DEP_3)
	v_mov_b32_dpp v8, v6 row_shr:4 row_mask:0xf bank_mask:0xf
	v_mov_b32_dpp v4, v2 row_shr:4 row_mask:0xf bank_mask:0xf
	s_delay_alu instid0(VALU_DEP_4)
	;; [unrolled: 12-line block ×3, first 2 shown]
	v_mov_b32_dpp v5, v3 row_shr:8 row_mask:0xf bank_mask:0xf
	s_and_saveexec_b32 s10, s3
	s_cbranch_execz .LBB104_1
; %bb.9:                                ;   in Loop: Header=BB104_2 Depth=1
	s_delay_alu instid0(VALU_DEP_1)
	v_add_f64 v[2:3], v[2:3], v[4:5]
	v_add_nc_u32_e32 v6, v8, v6
	s_branch .LBB104_1
.LBB104_10:
	v_add_co_u32 v0, vcc_lo, s6, v0
	v_add_co_ci_u32_e32 v1, vcc_lo, s7, v1, vcc_lo
	s_clause 0x1
	global_store_b32 v[0:1], v6, off
	global_store_b64 v[0:1], v[2:3], off offset:8
	s_nop 0
	s_sendmsg sendmsg(MSG_DEALLOC_VGPRS)
	s_endpgm
	.section	.rodata,"a",@progbits
	.p2align	6, 0x0
	.amdhsa_kernel _Z6kernelI14exclusive_scanN6common11custom_typeIidLb0EEELj16ELj100EEvPKT0_PS4_S4_
		.amdhsa_group_segment_fixed_size 0
		.amdhsa_private_segment_fixed_size 0
		.amdhsa_kernarg_size 288
		.amdhsa_user_sgpr_count 15
		.amdhsa_user_sgpr_dispatch_ptr 0
		.amdhsa_user_sgpr_queue_ptr 0
		.amdhsa_user_sgpr_kernarg_segment_ptr 1
		.amdhsa_user_sgpr_dispatch_id 0
		.amdhsa_user_sgpr_private_segment_size 0
		.amdhsa_wavefront_size32 1
		.amdhsa_uses_dynamic_stack 0
		.amdhsa_enable_private_segment 0
		.amdhsa_system_sgpr_workgroup_id_x 1
		.amdhsa_system_sgpr_workgroup_id_y 0
		.amdhsa_system_sgpr_workgroup_id_z 0
		.amdhsa_system_sgpr_workgroup_info 0
		.amdhsa_system_vgpr_workitem_id 0
		.amdhsa_next_free_vgpr 9
		.amdhsa_next_free_sgpr 16
		.amdhsa_reserve_vcc 1
		.amdhsa_float_round_mode_32 0
		.amdhsa_float_round_mode_16_64 0
		.amdhsa_float_denorm_mode_32 3
		.amdhsa_float_denorm_mode_16_64 3
		.amdhsa_dx10_clamp 1
		.amdhsa_ieee_mode 1
		.amdhsa_fp16_overflow 0
		.amdhsa_workgroup_processor_mode 1
		.amdhsa_memory_ordered 1
		.amdhsa_forward_progress 0
		.amdhsa_shared_vgpr_count 0
		.amdhsa_exception_fp_ieee_invalid_op 0
		.amdhsa_exception_fp_denorm_src 0
		.amdhsa_exception_fp_ieee_div_zero 0
		.amdhsa_exception_fp_ieee_overflow 0
		.amdhsa_exception_fp_ieee_underflow 0
		.amdhsa_exception_fp_ieee_inexact 0
		.amdhsa_exception_int_div_zero 0
	.end_amdhsa_kernel
	.section	.text._Z6kernelI14exclusive_scanN6common11custom_typeIidLb0EEELj16ELj100EEvPKT0_PS4_S4_,"axG",@progbits,_Z6kernelI14exclusive_scanN6common11custom_typeIidLb0EEELj16ELj100EEvPKT0_PS4_S4_,comdat
.Lfunc_end104:
	.size	_Z6kernelI14exclusive_scanN6common11custom_typeIidLb0EEELj16ELj100EEvPKT0_PS4_S4_, .Lfunc_end104-_Z6kernelI14exclusive_scanN6common11custom_typeIidLb0EEELj16ELj100EEvPKT0_PS4_S4_
                                        ; -- End function
	.section	.AMDGPU.csdata,"",@progbits
; Kernel info:
; codeLenInByte = 568
; NumSgprs: 18
; NumVgprs: 9
; ScratchSize: 0
; MemoryBound: 0
; FloatMode: 240
; IeeeMode: 1
; LDSByteSize: 0 bytes/workgroup (compile time only)
; SGPRBlocks: 2
; VGPRBlocks: 1
; NumSGPRsForWavesPerEU: 18
; NumVGPRsForWavesPerEU: 9
; Occupancy: 16
; WaveLimiterHint : 0
; COMPUTE_PGM_RSRC2:SCRATCH_EN: 0
; COMPUTE_PGM_RSRC2:USER_SGPR: 15
; COMPUTE_PGM_RSRC2:TRAP_HANDLER: 0
; COMPUTE_PGM_RSRC2:TGID_X_EN: 1
; COMPUTE_PGM_RSRC2:TGID_Y_EN: 0
; COMPUTE_PGM_RSRC2:TGID_Z_EN: 0
; COMPUTE_PGM_RSRC2:TIDIG_COMP_CNT: 0
	.section	.text._Z6kernelI14exclusive_scanN6common11custom_typeIidLb0EEELj63ELj100EEvPKT0_PS4_S4_,"axG",@progbits,_Z6kernelI14exclusive_scanN6common11custom_typeIidLb0EEELj63ELj100EEvPKT0_PS4_S4_,comdat
	.protected	_Z6kernelI14exclusive_scanN6common11custom_typeIidLb0EEELj63ELj100EEvPKT0_PS4_S4_ ; -- Begin function _Z6kernelI14exclusive_scanN6common11custom_typeIidLb0EEELj63ELj100EEvPKT0_PS4_S4_
	.globl	_Z6kernelI14exclusive_scanN6common11custom_typeIidLb0EEELj63ELj100EEvPKT0_PS4_S4_
	.p2align	8
	.type	_Z6kernelI14exclusive_scanN6common11custom_typeIidLb0EEELj63ELj100EEvPKT0_PS4_S4_,@function
_Z6kernelI14exclusive_scanN6common11custom_typeIidLb0EEELj63ELj100EEvPKT0_PS4_S4_: ; @_Z6kernelI14exclusive_scanN6common11custom_typeIidLb0EEELj63ELj100EEvPKT0_PS4_S4_
; %bb.0:
	s_clause 0x1
	s_load_b32 s4, s[0:1], 0x2c
	s_load_b128 s[0:3], s[0:1], 0x0
	s_waitcnt lgkmcnt(0)
	s_and_b32 s4, s4, 0xffff
	s_delay_alu instid0(SALU_CYCLE_1) | instskip(SKIP_1) | instid1(VALU_DEP_1)
	v_mad_u64_u32 v[1:2], null, s15, s4, v[0:1]
	v_mov_b32_e32 v2, 0
	v_lshlrev_b64 v[0:1], 4, v[1:2]
	s_delay_alu instid0(VALU_DEP_1) | instskip(NEXT) | instid1(VALU_DEP_2)
	v_add_co_u32 v2, vcc_lo, s0, v0
	v_add_co_ci_u32_e32 v3, vcc_lo, s1, v1, vcc_lo
	v_add_co_u32 v0, vcc_lo, s2, v0
	v_add_co_ci_u32_e32 v1, vcc_lo, s3, v1, vcc_lo
	s_clause 0x1
	global_load_b32 v4, v[2:3], off
	global_load_b64 v[2:3], v[2:3], off offset:8
	s_waitcnt vmcnt(1)
	global_store_b32 v[0:1], v4, off
	s_waitcnt vmcnt(0)
	global_store_b64 v[0:1], v[2:3], off offset:8
	s_nop 0
	s_sendmsg sendmsg(MSG_DEALLOC_VGPRS)
	s_endpgm
	.section	.rodata,"a",@progbits
	.p2align	6, 0x0
	.amdhsa_kernel _Z6kernelI14exclusive_scanN6common11custom_typeIidLb0EEELj63ELj100EEvPKT0_PS4_S4_
		.amdhsa_group_segment_fixed_size 0
		.amdhsa_private_segment_fixed_size 0
		.amdhsa_kernarg_size 288
		.amdhsa_user_sgpr_count 15
		.amdhsa_user_sgpr_dispatch_ptr 0
		.amdhsa_user_sgpr_queue_ptr 0
		.amdhsa_user_sgpr_kernarg_segment_ptr 1
		.amdhsa_user_sgpr_dispatch_id 0
		.amdhsa_user_sgpr_private_segment_size 0
		.amdhsa_wavefront_size32 1
		.amdhsa_uses_dynamic_stack 0
		.amdhsa_enable_private_segment 0
		.amdhsa_system_sgpr_workgroup_id_x 1
		.amdhsa_system_sgpr_workgroup_id_y 0
		.amdhsa_system_sgpr_workgroup_id_z 0
		.amdhsa_system_sgpr_workgroup_info 0
		.amdhsa_system_vgpr_workitem_id 0
		.amdhsa_next_free_vgpr 5
		.amdhsa_next_free_sgpr 16
		.amdhsa_reserve_vcc 1
		.amdhsa_float_round_mode_32 0
		.amdhsa_float_round_mode_16_64 0
		.amdhsa_float_denorm_mode_32 3
		.amdhsa_float_denorm_mode_16_64 3
		.amdhsa_dx10_clamp 1
		.amdhsa_ieee_mode 1
		.amdhsa_fp16_overflow 0
		.amdhsa_workgroup_processor_mode 1
		.amdhsa_memory_ordered 1
		.amdhsa_forward_progress 0
		.amdhsa_shared_vgpr_count 0
		.amdhsa_exception_fp_ieee_invalid_op 0
		.amdhsa_exception_fp_denorm_src 0
		.amdhsa_exception_fp_ieee_div_zero 0
		.amdhsa_exception_fp_ieee_overflow 0
		.amdhsa_exception_fp_ieee_underflow 0
		.amdhsa_exception_fp_ieee_inexact 0
		.amdhsa_exception_int_div_zero 0
	.end_amdhsa_kernel
	.section	.text._Z6kernelI14exclusive_scanN6common11custom_typeIidLb0EEELj63ELj100EEvPKT0_PS4_S4_,"axG",@progbits,_Z6kernelI14exclusive_scanN6common11custom_typeIidLb0EEELj63ELj100EEvPKT0_PS4_S4_,comdat
.Lfunc_end105:
	.size	_Z6kernelI14exclusive_scanN6common11custom_typeIidLb0EEELj63ELj100EEvPKT0_PS4_S4_, .Lfunc_end105-_Z6kernelI14exclusive_scanN6common11custom_typeIidLb0EEELj63ELj100EEvPKT0_PS4_S4_
                                        ; -- End function
	.section	.AMDGPU.csdata,"",@progbits
; Kernel info:
; codeLenInByte = 140
; NumSgprs: 18
; NumVgprs: 5
; ScratchSize: 0
; MemoryBound: 0
; FloatMode: 240
; IeeeMode: 1
; LDSByteSize: 0 bytes/workgroup (compile time only)
; SGPRBlocks: 2
; VGPRBlocks: 0
; NumSGPRsForWavesPerEU: 18
; NumVGPRsForWavesPerEU: 5
; Occupancy: 16
; WaveLimiterHint : 0
; COMPUTE_PGM_RSRC2:SCRATCH_EN: 0
; COMPUTE_PGM_RSRC2:USER_SGPR: 15
; COMPUTE_PGM_RSRC2:TRAP_HANDLER: 0
; COMPUTE_PGM_RSRC2:TGID_X_EN: 1
; COMPUTE_PGM_RSRC2:TGID_Y_EN: 0
; COMPUTE_PGM_RSRC2:TGID_Z_EN: 0
; COMPUTE_PGM_RSRC2:TIDIG_COMP_CNT: 0
	.section	.text._Z6kernelI14exclusive_scanN6common11custom_typeIidLb0EEELj31ELj100EEvPKT0_PS4_S4_,"axG",@progbits,_Z6kernelI14exclusive_scanN6common11custom_typeIidLb0EEELj31ELj100EEvPKT0_PS4_S4_,comdat
	.protected	_Z6kernelI14exclusive_scanN6common11custom_typeIidLb0EEELj31ELj100EEvPKT0_PS4_S4_ ; -- Begin function _Z6kernelI14exclusive_scanN6common11custom_typeIidLb0EEELj31ELj100EEvPKT0_PS4_S4_
	.globl	_Z6kernelI14exclusive_scanN6common11custom_typeIidLb0EEELj31ELj100EEvPKT0_PS4_S4_
	.p2align	8
	.type	_Z6kernelI14exclusive_scanN6common11custom_typeIidLb0EEELj31ELj100EEvPKT0_PS4_S4_,@function
_Z6kernelI14exclusive_scanN6common11custom_typeIidLb0EEELj31ELj100EEvPKT0_PS4_S4_: ; @_Z6kernelI14exclusive_scanN6common11custom_typeIidLb0EEELj31ELj100EEvPKT0_PS4_S4_
; %bb.0:
	s_clause 0x1
	s_load_b32 s2, s[0:1], 0x2c
	s_load_b128 s[4:7], s[0:1], 0x0
	v_mbcnt_lo_u32_b32 v4, -1, 0
	s_load_b32 s8, s[0:1], 0x10
	s_movk_i32 s9, 0x64
	s_delay_alu instid0(VALU_DEP_1) | instskip(NEXT) | instid1(VALU_DEP_1)
	v_mul_hi_u32 v6, 0x8421085, v4
	v_mul_u32_u24_e32 v6, 31, v6
	s_delay_alu instid0(VALU_DEP_1) | instskip(SKIP_2) | instid1(SALU_CYCLE_1)
	v_sub_nc_u32_e32 v6, v4, v6
	s_waitcnt lgkmcnt(0)
	s_and_b32 s2, s2, 0xffff
	v_mad_u64_u32 v[1:2], null, s15, s2, v[0:1]
	s_delay_alu instid0(VALU_DEP_2) | instskip(SKIP_3) | instid1(VALU_DEP_4)
	v_lshlrev_b32_e32 v4, 4, v6
	v_mov_b32_e32 v2, 0
	v_cmp_lt_u32_e64 s2, 7, v6
	v_cmp_lt_u32_e64 s3, 15, v6
	v_add_nc_u32_e32 v9, 0xffffff80, v4
	s_delay_alu instid0(VALU_DEP_4) | instskip(SKIP_3) | instid1(VALU_DEP_4)
	v_lshlrev_b64 v[0:1], 4, v[1:2]
	v_subrev_nc_u32_e32 v7, 32, v4
	v_subrev_nc_u32_e32 v8, 64, v4
	v_add_nc_u32_e32 v10, 0xffffff00, v4
	v_add_co_u32 v2, vcc_lo, s4, v0
	v_add_co_ci_u32_e32 v3, vcc_lo, s5, v1, vcc_lo
	s_load_b64 s[4:5], s[0:1], 0x18
	v_cmp_ne_u32_e32 vcc_lo, 0, v6
	s_clause 0x1
	global_load_b32 v5, v[2:3], off
	global_load_b64 v[2:3], v[2:3], off offset:8
	v_cmp_lt_u32_e64 s0, 1, v6
	v_cmp_lt_u32_e64 s1, 3, v6
	v_add_nc_u32_e32 v6, -16, v4
	s_branch .LBB106_2
.LBB106_1:                              ;   in Loop: Header=BB106_2 Depth=1
	s_or_b32 exec_lo, exec_lo, s10
	s_add_i32 s9, s9, -1
	s_delay_alu instid0(SALU_CYCLE_1)
	s_cmp_lg_u32 s9, 0
	s_cbranch_scc0 .LBB106_24
.LBB106_2:                              ; =>This Inner Loop Header: Depth=1
	s_waitcnt vmcnt(1)
	ds_store_b32 v4, v5
	s_waitcnt vmcnt(0)
	ds_store_b64 v4, v[2:3] offset:8
	; wave barrier
	s_and_saveexec_b32 s10, vcc_lo
	s_cbranch_execz .LBB106_4
; %bb.3:                                ;   in Loop: Header=BB106_2 Depth=1
	ds_load_b64 v[11:12], v6 offset:8
	s_waitcnt lgkmcnt(0)
	v_add_f64 v[2:3], v[2:3], v[11:12]
	ds_load_b32 v11, v6
	s_waitcnt lgkmcnt(0)
	v_add_nc_u32_e32 v5, v11, v5
.LBB106_4:                              ;   in Loop: Header=BB106_2 Depth=1
	s_or_b32 exec_lo, exec_lo, s10
	; wave barrier
	s_and_saveexec_b32 s10, vcc_lo
	s_cbranch_execz .LBB106_6
; %bb.5:                                ;   in Loop: Header=BB106_2 Depth=1
	ds_store_b32 v4, v5
	ds_store_b64 v4, v[2:3] offset:8
.LBB106_6:                              ;   in Loop: Header=BB106_2 Depth=1
	s_or_b32 exec_lo, exec_lo, s10
	; wave barrier
	s_and_saveexec_b32 s10, s0
	s_cbranch_execz .LBB106_8
; %bb.7:                                ;   in Loop: Header=BB106_2 Depth=1
	ds_load_b64 v[11:12], v7 offset:8
	s_waitcnt lgkmcnt(0)
	v_add_f64 v[2:3], v[2:3], v[11:12]
	ds_load_b32 v11, v7
	s_waitcnt lgkmcnt(0)
	v_add_nc_u32_e32 v5, v11, v5
.LBB106_8:                              ;   in Loop: Header=BB106_2 Depth=1
	s_or_b32 exec_lo, exec_lo, s10
	; wave barrier
	s_and_saveexec_b32 s10, s0
	s_cbranch_execz .LBB106_10
; %bb.9:                                ;   in Loop: Header=BB106_2 Depth=1
	ds_store_b32 v4, v5
	ds_store_b64 v4, v[2:3] offset:8
.LBB106_10:                             ;   in Loop: Header=BB106_2 Depth=1
	s_or_b32 exec_lo, exec_lo, s10
	; wave barrier
	s_and_saveexec_b32 s10, s1
	s_cbranch_execz .LBB106_12
; %bb.11:                               ;   in Loop: Header=BB106_2 Depth=1
	ds_load_b64 v[11:12], v8 offset:8
	s_waitcnt lgkmcnt(0)
	v_add_f64 v[2:3], v[2:3], v[11:12]
	ds_load_b32 v11, v8
	s_waitcnt lgkmcnt(0)
	v_add_nc_u32_e32 v5, v11, v5
.LBB106_12:                             ;   in Loop: Header=BB106_2 Depth=1
	s_or_b32 exec_lo, exec_lo, s10
	; wave barrier
	s_and_saveexec_b32 s10, s1
	s_cbranch_execz .LBB106_14
; %bb.13:                               ;   in Loop: Header=BB106_2 Depth=1
	ds_store_b32 v4, v5
	ds_store_b64 v4, v[2:3] offset:8
.LBB106_14:                             ;   in Loop: Header=BB106_2 Depth=1
	s_or_b32 exec_lo, exec_lo, s10
	; wave barrier
	s_and_saveexec_b32 s10, s2
	s_cbranch_execz .LBB106_16
; %bb.15:                               ;   in Loop: Header=BB106_2 Depth=1
	ds_load_b64 v[11:12], v9 offset:8
	s_waitcnt lgkmcnt(0)
	v_add_f64 v[2:3], v[2:3], v[11:12]
	ds_load_b32 v11, v9
	s_waitcnt lgkmcnt(0)
	v_add_nc_u32_e32 v5, v11, v5
.LBB106_16:                             ;   in Loop: Header=BB106_2 Depth=1
	s_or_b32 exec_lo, exec_lo, s10
	; wave barrier
	s_and_saveexec_b32 s10, s2
	s_cbranch_execz .LBB106_18
; %bb.17:                               ;   in Loop: Header=BB106_2 Depth=1
	ds_store_b32 v4, v5
	ds_store_b64 v4, v[2:3] offset:8
.LBB106_18:                             ;   in Loop: Header=BB106_2 Depth=1
	;; [unrolled: 20-line block ×3, first 2 shown]
	s_or_b32 exec_lo, exec_lo, s10
	s_waitcnt lgkmcnt(0)
	v_dual_mov_b32 v5, s8 :: v_dual_mov_b32 v2, s4
	v_mov_b32_e32 v3, s5
	; wave barrier
	s_and_saveexec_b32 s10, vcc_lo
	s_cbranch_execz .LBB106_1
; %bb.23:                               ;   in Loop: Header=BB106_2 Depth=1
	ds_load_b64 v[2:3], v6 offset:8
	ds_load_b32 v5, v6
	s_waitcnt lgkmcnt(1)
	v_add_f64 v[2:3], s[4:5], v[2:3]
	s_waitcnt lgkmcnt(0)
	v_add_nc_u32_e32 v5, s8, v5
	s_branch .LBB106_1
.LBB106_24:
	v_add_co_u32 v0, vcc_lo, s6, v0
	v_add_co_ci_u32_e32 v1, vcc_lo, s7, v1, vcc_lo
	s_clause 0x1
	global_store_b32 v[0:1], v5, off
	global_store_b64 v[0:1], v[2:3], off offset:8
	s_nop 0
	s_sendmsg sendmsg(MSG_DEALLOC_VGPRS)
	s_endpgm
	.section	.rodata,"a",@progbits
	.p2align	6, 0x0
	.amdhsa_kernel _Z6kernelI14exclusive_scanN6common11custom_typeIidLb0EEELj31ELj100EEvPKT0_PS4_S4_
		.amdhsa_group_segment_fixed_size 496
		.amdhsa_private_segment_fixed_size 0
		.amdhsa_kernarg_size 288
		.amdhsa_user_sgpr_count 15
		.amdhsa_user_sgpr_dispatch_ptr 0
		.amdhsa_user_sgpr_queue_ptr 0
		.amdhsa_user_sgpr_kernarg_segment_ptr 1
		.amdhsa_user_sgpr_dispatch_id 0
		.amdhsa_user_sgpr_private_segment_size 0
		.amdhsa_wavefront_size32 1
		.amdhsa_uses_dynamic_stack 0
		.amdhsa_enable_private_segment 0
		.amdhsa_system_sgpr_workgroup_id_x 1
		.amdhsa_system_sgpr_workgroup_id_y 0
		.amdhsa_system_sgpr_workgroup_id_z 0
		.amdhsa_system_sgpr_workgroup_info 0
		.amdhsa_system_vgpr_workitem_id 0
		.amdhsa_next_free_vgpr 13
		.amdhsa_next_free_sgpr 16
		.amdhsa_reserve_vcc 1
		.amdhsa_float_round_mode_32 0
		.amdhsa_float_round_mode_16_64 0
		.amdhsa_float_denorm_mode_32 3
		.amdhsa_float_denorm_mode_16_64 3
		.amdhsa_dx10_clamp 1
		.amdhsa_ieee_mode 1
		.amdhsa_fp16_overflow 0
		.amdhsa_workgroup_processor_mode 1
		.amdhsa_memory_ordered 1
		.amdhsa_forward_progress 0
		.amdhsa_shared_vgpr_count 0
		.amdhsa_exception_fp_ieee_invalid_op 0
		.amdhsa_exception_fp_denorm_src 0
		.amdhsa_exception_fp_ieee_div_zero 0
		.amdhsa_exception_fp_ieee_overflow 0
		.amdhsa_exception_fp_ieee_underflow 0
		.amdhsa_exception_fp_ieee_inexact 0
		.amdhsa_exception_int_div_zero 0
	.end_amdhsa_kernel
	.section	.text._Z6kernelI14exclusive_scanN6common11custom_typeIidLb0EEELj31ELj100EEvPKT0_PS4_S4_,"axG",@progbits,_Z6kernelI14exclusive_scanN6common11custom_typeIidLb0EEELj31ELj100EEvPKT0_PS4_S4_,comdat
.Lfunc_end106:
	.size	_Z6kernelI14exclusive_scanN6common11custom_typeIidLb0EEELj31ELj100EEvPKT0_PS4_S4_, .Lfunc_end106-_Z6kernelI14exclusive_scanN6common11custom_typeIidLb0EEELj31ELj100EEvPKT0_PS4_S4_
                                        ; -- End function
	.section	.AMDGPU.csdata,"",@progbits
; Kernel info:
; codeLenInByte = 752
; NumSgprs: 18
; NumVgprs: 13
; ScratchSize: 0
; MemoryBound: 0
; FloatMode: 240
; IeeeMode: 1
; LDSByteSize: 496 bytes/workgroup (compile time only)
; SGPRBlocks: 2
; VGPRBlocks: 1
; NumSGPRsForWavesPerEU: 18
; NumVGPRsForWavesPerEU: 13
; Occupancy: 16
; WaveLimiterHint : 0
; COMPUTE_PGM_RSRC2:SCRATCH_EN: 0
; COMPUTE_PGM_RSRC2:USER_SGPR: 15
; COMPUTE_PGM_RSRC2:TRAP_HANDLER: 0
; COMPUTE_PGM_RSRC2:TGID_X_EN: 1
; COMPUTE_PGM_RSRC2:TGID_Y_EN: 0
; COMPUTE_PGM_RSRC2:TGID_Z_EN: 0
; COMPUTE_PGM_RSRC2:TIDIG_COMP_CNT: 0
	.section	.text._Z6kernelI14exclusive_scanN6common11custom_typeIidLb0EEELj15ELj100EEvPKT0_PS4_S4_,"axG",@progbits,_Z6kernelI14exclusive_scanN6common11custom_typeIidLb0EEELj15ELj100EEvPKT0_PS4_S4_,comdat
	.protected	_Z6kernelI14exclusive_scanN6common11custom_typeIidLb0EEELj15ELj100EEvPKT0_PS4_S4_ ; -- Begin function _Z6kernelI14exclusive_scanN6common11custom_typeIidLb0EEELj15ELj100EEvPKT0_PS4_S4_
	.globl	_Z6kernelI14exclusive_scanN6common11custom_typeIidLb0EEELj15ELj100EEvPKT0_PS4_S4_
	.p2align	8
	.type	_Z6kernelI14exclusive_scanN6common11custom_typeIidLb0EEELj15ELj100EEvPKT0_PS4_S4_,@function
_Z6kernelI14exclusive_scanN6common11custom_typeIidLb0EEELj15ELj100EEvPKT0_PS4_S4_: ; @_Z6kernelI14exclusive_scanN6common11custom_typeIidLb0EEELj15ELj100EEvPKT0_PS4_S4_
; %bb.0:
	s_clause 0x1
	s_load_b32 s2, s[0:1], 0x2c
	s_load_b128 s[4:7], s[0:1], 0x0
	v_mbcnt_lo_u32_b32 v4, -1, 0
	s_load_b32 s3, s[0:1], 0x10
	s_movk_i32 s8, 0x64
	s_delay_alu instid0(VALU_DEP_1) | instskip(NEXT) | instid1(VALU_DEP_1)
	v_mul_hi_u32 v6, 0x11111112, v4
	v_mul_u32_u24_e32 v6, 15, v6
	s_delay_alu instid0(VALU_DEP_1) | instskip(SKIP_2) | instid1(SALU_CYCLE_1)
	v_sub_nc_u32_e32 v6, v4, v6
	s_waitcnt lgkmcnt(0)
	s_and_b32 s2, s2, 0xffff
	v_mad_u64_u32 v[1:2], null, s15, s2, v[0:1]
	s_delay_alu instid0(VALU_DEP_2) | instskip(SKIP_2) | instid1(VALU_DEP_3)
	v_lshlrev_b32_e32 v4, 4, v6
	v_mov_b32_e32 v2, 0
	v_cmp_lt_u32_e64 s2, 7, v6
	v_add_nc_u32_e32 v9, 0xffffff80, v4
	s_delay_alu instid0(VALU_DEP_3) | instskip(SKIP_2) | instid1(VALU_DEP_3)
	v_lshlrev_b64 v[0:1], 4, v[1:2]
	v_subrev_nc_u32_e32 v7, 32, v4
	v_subrev_nc_u32_e32 v8, 64, v4
	v_add_co_u32 v2, vcc_lo, s4, v0
	s_delay_alu instid0(VALU_DEP_4)
	v_add_co_ci_u32_e32 v3, vcc_lo, s5, v1, vcc_lo
	s_load_b64 s[4:5], s[0:1], 0x18
	v_cmp_ne_u32_e32 vcc_lo, 0, v6
	s_clause 0x1
	global_load_b32 v5, v[2:3], off
	global_load_b64 v[2:3], v[2:3], off offset:8
	v_cmp_lt_u32_e64 s0, 1, v6
	v_cmp_lt_u32_e64 s1, 3, v6
	v_add_nc_u32_e32 v6, -16, v4
	s_branch .LBB107_2
.LBB107_1:                              ;   in Loop: Header=BB107_2 Depth=1
	s_or_b32 exec_lo, exec_lo, s9
	s_add_i32 s8, s8, -1
	s_delay_alu instid0(SALU_CYCLE_1)
	s_cmp_lg_u32 s8, 0
	s_cbranch_scc0 .LBB107_20
.LBB107_2:                              ; =>This Inner Loop Header: Depth=1
	s_waitcnt vmcnt(1)
	ds_store_b32 v4, v5
	s_waitcnt vmcnt(0)
	ds_store_b64 v4, v[2:3] offset:8
	; wave barrier
	s_and_saveexec_b32 s9, vcc_lo
	s_cbranch_execz .LBB107_4
; %bb.3:                                ;   in Loop: Header=BB107_2 Depth=1
	ds_load_b64 v[10:11], v6 offset:8
	s_waitcnt lgkmcnt(0)
	v_add_f64 v[2:3], v[2:3], v[10:11]
	ds_load_b32 v10, v6
	s_waitcnt lgkmcnt(0)
	v_add_nc_u32_e32 v5, v10, v5
.LBB107_4:                              ;   in Loop: Header=BB107_2 Depth=1
	s_or_b32 exec_lo, exec_lo, s9
	; wave barrier
	s_and_saveexec_b32 s9, vcc_lo
	s_cbranch_execz .LBB107_6
; %bb.5:                                ;   in Loop: Header=BB107_2 Depth=1
	ds_store_b32 v4, v5
	ds_store_b64 v4, v[2:3] offset:8
.LBB107_6:                              ;   in Loop: Header=BB107_2 Depth=1
	s_or_b32 exec_lo, exec_lo, s9
	; wave barrier
	s_and_saveexec_b32 s9, s0
	s_cbranch_execz .LBB107_8
; %bb.7:                                ;   in Loop: Header=BB107_2 Depth=1
	ds_load_b64 v[10:11], v7 offset:8
	s_waitcnt lgkmcnt(0)
	v_add_f64 v[2:3], v[2:3], v[10:11]
	ds_load_b32 v10, v7
	s_waitcnt lgkmcnt(0)
	v_add_nc_u32_e32 v5, v10, v5
.LBB107_8:                              ;   in Loop: Header=BB107_2 Depth=1
	s_or_b32 exec_lo, exec_lo, s9
	; wave barrier
	s_and_saveexec_b32 s9, s0
	s_cbranch_execz .LBB107_10
; %bb.9:                                ;   in Loop: Header=BB107_2 Depth=1
	ds_store_b32 v4, v5
	ds_store_b64 v4, v[2:3] offset:8
.LBB107_10:                             ;   in Loop: Header=BB107_2 Depth=1
	s_or_b32 exec_lo, exec_lo, s9
	; wave barrier
	s_and_saveexec_b32 s9, s1
	s_cbranch_execz .LBB107_12
; %bb.11:                               ;   in Loop: Header=BB107_2 Depth=1
	ds_load_b64 v[10:11], v8 offset:8
	s_waitcnt lgkmcnt(0)
	v_add_f64 v[2:3], v[2:3], v[10:11]
	ds_load_b32 v10, v8
	s_waitcnt lgkmcnt(0)
	v_add_nc_u32_e32 v5, v10, v5
.LBB107_12:                             ;   in Loop: Header=BB107_2 Depth=1
	s_or_b32 exec_lo, exec_lo, s9
	; wave barrier
	s_and_saveexec_b32 s9, s1
	s_cbranch_execz .LBB107_14
; %bb.13:                               ;   in Loop: Header=BB107_2 Depth=1
	ds_store_b32 v4, v5
	ds_store_b64 v4, v[2:3] offset:8
.LBB107_14:                             ;   in Loop: Header=BB107_2 Depth=1
	s_or_b32 exec_lo, exec_lo, s9
	; wave barrier
	s_and_saveexec_b32 s9, s2
	s_cbranch_execz .LBB107_16
; %bb.15:                               ;   in Loop: Header=BB107_2 Depth=1
	ds_load_b64 v[10:11], v9 offset:8
	s_waitcnt lgkmcnt(0)
	v_add_f64 v[2:3], v[2:3], v[10:11]
	ds_load_b32 v10, v9
	s_waitcnt lgkmcnt(0)
	v_add_nc_u32_e32 v5, v10, v5
.LBB107_16:                             ;   in Loop: Header=BB107_2 Depth=1
	s_or_b32 exec_lo, exec_lo, s9
	; wave barrier
	s_and_saveexec_b32 s9, s2
	s_cbranch_execz .LBB107_18
; %bb.17:                               ;   in Loop: Header=BB107_2 Depth=1
	ds_store_b32 v4, v5
	ds_store_b64 v4, v[2:3] offset:8
.LBB107_18:                             ;   in Loop: Header=BB107_2 Depth=1
	s_or_b32 exec_lo, exec_lo, s9
	s_waitcnt lgkmcnt(0)
	v_dual_mov_b32 v5, s3 :: v_dual_mov_b32 v2, s4
	v_mov_b32_e32 v3, s5
	; wave barrier
	s_and_saveexec_b32 s9, vcc_lo
	s_cbranch_execz .LBB107_1
; %bb.19:                               ;   in Loop: Header=BB107_2 Depth=1
	ds_load_b64 v[2:3], v6 offset:8
	ds_load_b32 v5, v6
	s_waitcnt lgkmcnt(1)
	v_add_f64 v[2:3], s[4:5], v[2:3]
	s_waitcnt lgkmcnt(0)
	v_add_nc_u32_e32 v5, s3, v5
	s_branch .LBB107_1
.LBB107_20:
	v_add_co_u32 v0, vcc_lo, s6, v0
	v_add_co_ci_u32_e32 v1, vcc_lo, s7, v1, vcc_lo
	s_clause 0x1
	global_store_b32 v[0:1], v5, off
	global_store_b64 v[0:1], v[2:3], off offset:8
	s_nop 0
	s_sendmsg sendmsg(MSG_DEALLOC_VGPRS)
	s_endpgm
	.section	.rodata,"a",@progbits
	.p2align	6, 0x0
	.amdhsa_kernel _Z6kernelI14exclusive_scanN6common11custom_typeIidLb0EEELj15ELj100EEvPKT0_PS4_S4_
		.amdhsa_group_segment_fixed_size 240
		.amdhsa_private_segment_fixed_size 0
		.amdhsa_kernarg_size 288
		.amdhsa_user_sgpr_count 15
		.amdhsa_user_sgpr_dispatch_ptr 0
		.amdhsa_user_sgpr_queue_ptr 0
		.amdhsa_user_sgpr_kernarg_segment_ptr 1
		.amdhsa_user_sgpr_dispatch_id 0
		.amdhsa_user_sgpr_private_segment_size 0
		.amdhsa_wavefront_size32 1
		.amdhsa_uses_dynamic_stack 0
		.amdhsa_enable_private_segment 0
		.amdhsa_system_sgpr_workgroup_id_x 1
		.amdhsa_system_sgpr_workgroup_id_y 0
		.amdhsa_system_sgpr_workgroup_id_z 0
		.amdhsa_system_sgpr_workgroup_info 0
		.amdhsa_system_vgpr_workitem_id 0
		.amdhsa_next_free_vgpr 12
		.amdhsa_next_free_sgpr 16
		.amdhsa_reserve_vcc 1
		.amdhsa_float_round_mode_32 0
		.amdhsa_float_round_mode_16_64 0
		.amdhsa_float_denorm_mode_32 3
		.amdhsa_float_denorm_mode_16_64 3
		.amdhsa_dx10_clamp 1
		.amdhsa_ieee_mode 1
		.amdhsa_fp16_overflow 0
		.amdhsa_workgroup_processor_mode 1
		.amdhsa_memory_ordered 1
		.amdhsa_forward_progress 0
		.amdhsa_shared_vgpr_count 0
		.amdhsa_exception_fp_ieee_invalid_op 0
		.amdhsa_exception_fp_denorm_src 0
		.amdhsa_exception_fp_ieee_div_zero 0
		.amdhsa_exception_fp_ieee_overflow 0
		.amdhsa_exception_fp_ieee_underflow 0
		.amdhsa_exception_fp_ieee_inexact 0
		.amdhsa_exception_int_div_zero 0
	.end_amdhsa_kernel
	.section	.text._Z6kernelI14exclusive_scanN6common11custom_typeIidLb0EEELj15ELj100EEvPKT0_PS4_S4_,"axG",@progbits,_Z6kernelI14exclusive_scanN6common11custom_typeIidLb0EEELj15ELj100EEvPKT0_PS4_S4_,comdat
.Lfunc_end107:
	.size	_Z6kernelI14exclusive_scanN6common11custom_typeIidLb0EEELj15ELj100EEvPKT0_PS4_S4_, .Lfunc_end107-_Z6kernelI14exclusive_scanN6common11custom_typeIidLb0EEELj15ELj100EEvPKT0_PS4_S4_
                                        ; -- End function
	.section	.AMDGPU.csdata,"",@progbits
; Kernel info:
; codeLenInByte = 664
; NumSgprs: 18
; NumVgprs: 12
; ScratchSize: 0
; MemoryBound: 0
; FloatMode: 240
; IeeeMode: 1
; LDSByteSize: 240 bytes/workgroup (compile time only)
; SGPRBlocks: 2
; VGPRBlocks: 1
; NumSGPRsForWavesPerEU: 18
; NumVGPRsForWavesPerEU: 12
; Occupancy: 16
; WaveLimiterHint : 0
; COMPUTE_PGM_RSRC2:SCRATCH_EN: 0
; COMPUTE_PGM_RSRC2:USER_SGPR: 15
; COMPUTE_PGM_RSRC2:TRAP_HANDLER: 0
; COMPUTE_PGM_RSRC2:TGID_X_EN: 1
; COMPUTE_PGM_RSRC2:TGID_Y_EN: 0
; COMPUTE_PGM_RSRC2:TGID_Z_EN: 0
; COMPUTE_PGM_RSRC2:TIDIG_COMP_CNT: 0
	.section	.text._Z6kernelI14exclusive_scannLj64ELj100EEvPKT0_PS1_S1_,"axG",@progbits,_Z6kernelI14exclusive_scannLj64ELj100EEvPKT0_PS1_S1_,comdat
	.protected	_Z6kernelI14exclusive_scannLj64ELj100EEvPKT0_PS1_S1_ ; -- Begin function _Z6kernelI14exclusive_scannLj64ELj100EEvPKT0_PS1_S1_
	.globl	_Z6kernelI14exclusive_scannLj64ELj100EEvPKT0_PS1_S1_
	.p2align	8
	.type	_Z6kernelI14exclusive_scannLj64ELj100EEvPKT0_PS1_S1_,@function
_Z6kernelI14exclusive_scannLj64ELj100EEvPKT0_PS1_S1_: ; @_Z6kernelI14exclusive_scannLj64ELj100EEvPKT0_PS1_S1_
; %bb.0:
	s_clause 0x1
	s_load_b32 s4, s[0:1], 0x2c
	s_load_b128 s[0:3], s[0:1], 0x0
	s_waitcnt lgkmcnt(0)
	s_and_b32 s4, s4, 0xffff
	s_delay_alu instid0(SALU_CYCLE_1) | instskip(SKIP_1) | instid1(VALU_DEP_1)
	v_mad_u64_u32 v[1:2], null, s15, s4, v[0:1]
	v_mov_b32_e32 v2, 0
	v_lshlrev_b64 v[4:5], 4, v[1:2]
	s_delay_alu instid0(VALU_DEP_1) | instskip(NEXT) | instid1(VALU_DEP_2)
	v_add_co_u32 v0, vcc_lo, s0, v4
	v_add_co_ci_u32_e32 v1, vcc_lo, s1, v5, vcc_lo
	v_add_co_u32 v4, vcc_lo, s2, v4
	v_add_co_ci_u32_e32 v5, vcc_lo, s3, v5, vcc_lo
	global_load_b128 v[0:3], v[0:1], off
	s_waitcnt vmcnt(0)
	global_store_b128 v[4:5], v[0:3], off
	s_nop 0
	s_sendmsg sendmsg(MSG_DEALLOC_VGPRS)
	s_endpgm
	.section	.rodata,"a",@progbits
	.p2align	6, 0x0
	.amdhsa_kernel _Z6kernelI14exclusive_scannLj64ELj100EEvPKT0_PS1_S1_
		.amdhsa_group_segment_fixed_size 0
		.amdhsa_private_segment_fixed_size 0
		.amdhsa_kernarg_size 288
		.amdhsa_user_sgpr_count 15
		.amdhsa_user_sgpr_dispatch_ptr 0
		.amdhsa_user_sgpr_queue_ptr 0
		.amdhsa_user_sgpr_kernarg_segment_ptr 1
		.amdhsa_user_sgpr_dispatch_id 0
		.amdhsa_user_sgpr_private_segment_size 0
		.amdhsa_wavefront_size32 1
		.amdhsa_uses_dynamic_stack 0
		.amdhsa_enable_private_segment 0
		.amdhsa_system_sgpr_workgroup_id_x 1
		.amdhsa_system_sgpr_workgroup_id_y 0
		.amdhsa_system_sgpr_workgroup_id_z 0
		.amdhsa_system_sgpr_workgroup_info 0
		.amdhsa_system_vgpr_workitem_id 0
		.amdhsa_next_free_vgpr 6
		.amdhsa_next_free_sgpr 16
		.amdhsa_reserve_vcc 1
		.amdhsa_float_round_mode_32 0
		.amdhsa_float_round_mode_16_64 0
		.amdhsa_float_denorm_mode_32 3
		.amdhsa_float_denorm_mode_16_64 3
		.amdhsa_dx10_clamp 1
		.amdhsa_ieee_mode 1
		.amdhsa_fp16_overflow 0
		.amdhsa_workgroup_processor_mode 1
		.amdhsa_memory_ordered 1
		.amdhsa_forward_progress 0
		.amdhsa_shared_vgpr_count 0
		.amdhsa_exception_fp_ieee_invalid_op 0
		.amdhsa_exception_fp_denorm_src 0
		.amdhsa_exception_fp_ieee_div_zero 0
		.amdhsa_exception_fp_ieee_overflow 0
		.amdhsa_exception_fp_ieee_underflow 0
		.amdhsa_exception_fp_ieee_inexact 0
		.amdhsa_exception_int_div_zero 0
	.end_amdhsa_kernel
	.section	.text._Z6kernelI14exclusive_scannLj64ELj100EEvPKT0_PS1_S1_,"axG",@progbits,_Z6kernelI14exclusive_scannLj64ELj100EEvPKT0_PS1_S1_,comdat
.Lfunc_end108:
	.size	_Z6kernelI14exclusive_scannLj64ELj100EEvPKT0_PS1_S1_, .Lfunc_end108-_Z6kernelI14exclusive_scannLj64ELj100EEvPKT0_PS1_S1_
                                        ; -- End function
	.section	.AMDGPU.csdata,"",@progbits
; Kernel info:
; codeLenInByte = 116
; NumSgprs: 18
; NumVgprs: 6
; ScratchSize: 0
; MemoryBound: 0
; FloatMode: 240
; IeeeMode: 1
; LDSByteSize: 0 bytes/workgroup (compile time only)
; SGPRBlocks: 2
; VGPRBlocks: 0
; NumSGPRsForWavesPerEU: 18
; NumVGPRsForWavesPerEU: 6
; Occupancy: 16
; WaveLimiterHint : 0
; COMPUTE_PGM_RSRC2:SCRATCH_EN: 0
; COMPUTE_PGM_RSRC2:USER_SGPR: 15
; COMPUTE_PGM_RSRC2:TRAP_HANDLER: 0
; COMPUTE_PGM_RSRC2:TGID_X_EN: 1
; COMPUTE_PGM_RSRC2:TGID_Y_EN: 0
; COMPUTE_PGM_RSRC2:TGID_Z_EN: 0
; COMPUTE_PGM_RSRC2:TIDIG_COMP_CNT: 0
	.section	.text._Z6kernelI14exclusive_scannLj32ELj100EEvPKT0_PS1_S1_,"axG",@progbits,_Z6kernelI14exclusive_scannLj32ELj100EEvPKT0_PS1_S1_,comdat
	.protected	_Z6kernelI14exclusive_scannLj32ELj100EEvPKT0_PS1_S1_ ; -- Begin function _Z6kernelI14exclusive_scannLj32ELj100EEvPKT0_PS1_S1_
	.globl	_Z6kernelI14exclusive_scannLj32ELj100EEvPKT0_PS1_S1_
	.p2align	8
	.type	_Z6kernelI14exclusive_scannLj32ELj100EEvPKT0_PS1_S1_,@function
_Z6kernelI14exclusive_scannLj32ELj100EEvPKT0_PS1_S1_: ; @_Z6kernelI14exclusive_scannLj32ELj100EEvPKT0_PS1_S1_
; %bb.0:
	s_clause 0x1
	s_load_b32 s2, s[0:1], 0x2c
	s_load_b256 s[4:11], s[0:1], 0x0
	v_mbcnt_lo_u32_b32 v7, -1, 0
	s_movk_i32 s12, 0x64
	s_delay_alu instid0(VALU_DEP_1) | instskip(SKIP_2) | instid1(VALU_DEP_2)
	v_add_nc_u32_e32 v8, -1, v7
	v_and_b32_e32 v6, 15, v7
	v_and_b32_e32 v9, 16, v7
	v_cmp_lt_u32_e64 s1, 1, v6
	v_cmp_lt_u32_e64 s3, 7, v6
	s_waitcnt lgkmcnt(0)
	s_and_b32 s0, s2, 0xffff
	v_cmp_lt_u32_e64 s2, 3, v6
	v_mad_u64_u32 v[1:2], null, s15, s0, v[0:1]
	v_mov_b32_e32 v2, 0
	v_cmp_ne_u32_e64 s0, 0, v6
	s_delay_alu instid0(VALU_DEP_2) | instskip(NEXT) | instid1(VALU_DEP_1)
	v_lshlrev_b64 v[4:5], 4, v[1:2]
	v_add_co_u32 v0, vcc_lo, s4, v4
	s_delay_alu instid0(VALU_DEP_2)
	v_add_co_ci_u32_e32 v1, vcc_lo, s5, v5, vcc_lo
	v_cmp_gt_i32_e32 vcc_lo, 0, v8
	v_cmp_ne_u32_e64 s4, 0, v9
	v_cmp_eq_u32_e64 s5, 0, v7
	global_load_b128 v[0:3], v[0:1], off
	v_cndmask_b32_e32 v8, v8, v7, vcc_lo
	s_delay_alu instid0(VALU_DEP_1)
	v_lshlrev_b32_e32 v6, 2, v8
	s_branch .LBB109_2
.LBB109_1:                              ;   in Loop: Header=BB109_2 Depth=1
	s_or_b32 exec_lo, exec_lo, s13
	v_add_co_u32 v0, vcc_lo, v0, s8
	v_add_co_ci_u32_e32 v1, vcc_lo, s9, v1, vcc_lo
	v_add_co_ci_u32_e32 v2, vcc_lo, s10, v2, vcc_lo
	;; [unrolled: 1-line block ×3, first 2 shown]
	ds_bpermute_b32 v0, v6, v0
	ds_bpermute_b32 v1, v6, v1
	;; [unrolled: 1-line block ×4, first 2 shown]
	s_add_i32 s12, s12, -1
	s_delay_alu instid0(SALU_CYCLE_1)
	s_cmp_lg_u32 s12, 0
	s_waitcnt lgkmcnt(3)
	v_cndmask_b32_e64 v0, v0, s8, s5
	s_waitcnt lgkmcnt(2)
	v_cndmask_b32_e64 v1, v1, s9, s5
	;; [unrolled: 2-line block ×4, first 2 shown]
	s_cbranch_scc0 .LBB109_12
.LBB109_2:                              ; =>This Inner Loop Header: Depth=1
	s_waitcnt vmcnt(0)
	v_mov_b32_dpp v12, v0 row_shr:1 row_mask:0xf bank_mask:0xf
	v_mov_b32_dpp v11, v1 row_shr:1 row_mask:0xf bank_mask:0xf
	;; [unrolled: 1-line block ×4, first 2 shown]
	v_dual_mov_b32 v8, v2 :: v_dual_mov_b32 v7, v0
	s_and_saveexec_b32 s13, s0
	s_cbranch_execz .LBB109_4
; %bb.3:                                ;   in Loop: Header=BB109_2 Depth=1
	v_add_co_u32 v7, vcc_lo, v0, v12
	v_add_co_ci_u32_e32 v1, vcc_lo, 0, v1, vcc_lo
	v_add_co_ci_u32_e32 v2, vcc_lo, 0, v2, vcc_lo
	v_add_co_ci_u32_e32 v3, vcc_lo, 0, v3, vcc_lo
	s_delay_alu instid0(VALU_DEP_4) | instskip(NEXT) | instid1(VALU_DEP_4)
	v_add_co_u32 v0, vcc_lo, 0, v7
	v_add_co_ci_u32_e32 v1, vcc_lo, v11, v1, vcc_lo
	s_delay_alu instid0(VALU_DEP_4) | instskip(NEXT) | instid1(VALU_DEP_4)
	v_add_co_ci_u32_e32 v2, vcc_lo, 0, v2, vcc_lo
	v_add_co_ci_u32_e32 v3, vcc_lo, 0, v3, vcc_lo
	s_delay_alu instid0(VALU_DEP_2) | instskip(NEXT) | instid1(VALU_DEP_2)
	v_add_co_u32 v8, vcc_lo, v2, v10
	v_add_co_ci_u32_e32 v3, vcc_lo, 0, v3, vcc_lo
	s_delay_alu instid0(VALU_DEP_2) | instskip(NEXT) | instid1(VALU_DEP_2)
	v_add_co_u32 v2, vcc_lo, v8, 0
	v_add_co_ci_u32_e32 v3, vcc_lo, v3, v9, vcc_lo
.LBB109_4:                              ;   in Loop: Header=BB109_2 Depth=1
	s_or_b32 exec_lo, exec_lo, s13
	s_delay_alu instid0(VALU_DEP_1)
	v_mov_b32_dpp v12, v7 row_shr:2 row_mask:0xf bank_mask:0xf
	v_mov_b32_dpp v11, v1 row_shr:2 row_mask:0xf bank_mask:0xf
	;; [unrolled: 1-line block ×4, first 2 shown]
	s_and_saveexec_b32 s13, s1
	s_cbranch_execz .LBB109_6
; %bb.5:                                ;   in Loop: Header=BB109_2 Depth=1
	v_add_co_u32 v7, vcc_lo, v0, v12
	v_add_co_ci_u32_e32 v1, vcc_lo, 0, v1, vcc_lo
	v_add_co_ci_u32_e32 v2, vcc_lo, 0, v2, vcc_lo
	;; [unrolled: 1-line block ×3, first 2 shown]
	s_delay_alu instid0(VALU_DEP_4) | instskip(NEXT) | instid1(VALU_DEP_4)
	v_add_co_u32 v0, vcc_lo, 0, v7
	v_add_co_ci_u32_e32 v1, vcc_lo, v11, v1, vcc_lo
	s_delay_alu instid0(VALU_DEP_4) | instskip(NEXT) | instid1(VALU_DEP_4)
	v_add_co_ci_u32_e32 v2, vcc_lo, 0, v2, vcc_lo
	v_add_co_ci_u32_e32 v3, vcc_lo, 0, v3, vcc_lo
	s_delay_alu instid0(VALU_DEP_2) | instskip(NEXT) | instid1(VALU_DEP_2)
	v_add_co_u32 v8, vcc_lo, v2, v10
	v_add_co_ci_u32_e32 v3, vcc_lo, 0, v3, vcc_lo
	s_delay_alu instid0(VALU_DEP_2) | instskip(NEXT) | instid1(VALU_DEP_2)
	v_add_co_u32 v2, vcc_lo, v8, 0
	v_add_co_ci_u32_e32 v3, vcc_lo, v3, v9, vcc_lo
.LBB109_6:                              ;   in Loop: Header=BB109_2 Depth=1
	s_or_b32 exec_lo, exec_lo, s13
	v_mov_b32_dpp v12, v7 row_shr:4 row_mask:0xf bank_mask:0xf
	v_mov_b32_dpp v11, v1 row_shr:4 row_mask:0xf bank_mask:0xf
	v_mov_b32_dpp v10, v8 row_shr:4 row_mask:0xf bank_mask:0xf
	v_mov_b32_dpp v9, v3 row_shr:4 row_mask:0xf bank_mask:0xf
	s_and_saveexec_b32 s13, s2
	s_cbranch_execz .LBB109_8
; %bb.7:                                ;   in Loop: Header=BB109_2 Depth=1
	v_add_co_u32 v7, vcc_lo, v0, v12
	v_add_co_ci_u32_e32 v1, vcc_lo, 0, v1, vcc_lo
	v_add_co_ci_u32_e32 v2, vcc_lo, 0, v2, vcc_lo
	;; [unrolled: 1-line block ×3, first 2 shown]
	s_delay_alu instid0(VALU_DEP_4) | instskip(NEXT) | instid1(VALU_DEP_4)
	v_add_co_u32 v0, vcc_lo, 0, v7
	v_add_co_ci_u32_e32 v1, vcc_lo, v11, v1, vcc_lo
	s_delay_alu instid0(VALU_DEP_4) | instskip(NEXT) | instid1(VALU_DEP_4)
	v_add_co_ci_u32_e32 v2, vcc_lo, 0, v2, vcc_lo
	v_add_co_ci_u32_e32 v3, vcc_lo, 0, v3, vcc_lo
	s_delay_alu instid0(VALU_DEP_2) | instskip(NEXT) | instid1(VALU_DEP_2)
	v_add_co_u32 v8, vcc_lo, v2, v10
	v_add_co_ci_u32_e32 v3, vcc_lo, 0, v3, vcc_lo
	s_delay_alu instid0(VALU_DEP_2) | instskip(NEXT) | instid1(VALU_DEP_2)
	v_add_co_u32 v2, vcc_lo, v8, 0
	v_add_co_ci_u32_e32 v3, vcc_lo, v3, v9, vcc_lo
.LBB109_8:                              ;   in Loop: Header=BB109_2 Depth=1
	s_or_b32 exec_lo, exec_lo, s13
	v_mov_b32_dpp v12, v7 row_shr:8 row_mask:0xf bank_mask:0xf
	v_mov_b32_dpp v11, v1 row_shr:8 row_mask:0xf bank_mask:0xf
	;; [unrolled: 1-line block ×4, first 2 shown]
	s_and_saveexec_b32 s13, s3
	s_cbranch_execz .LBB109_10
; %bb.9:                                ;   in Loop: Header=BB109_2 Depth=1
	v_add_co_u32 v7, vcc_lo, v0, v12
	v_add_co_ci_u32_e32 v1, vcc_lo, 0, v1, vcc_lo
	v_add_co_ci_u32_e32 v2, vcc_lo, 0, v2, vcc_lo
	;; [unrolled: 1-line block ×3, first 2 shown]
	s_delay_alu instid0(VALU_DEP_4) | instskip(NEXT) | instid1(VALU_DEP_4)
	v_add_co_u32 v0, vcc_lo, 0, v7
	v_add_co_ci_u32_e32 v1, vcc_lo, v11, v1, vcc_lo
	s_delay_alu instid0(VALU_DEP_4) | instskip(NEXT) | instid1(VALU_DEP_4)
	v_add_co_ci_u32_e32 v2, vcc_lo, 0, v2, vcc_lo
	v_add_co_ci_u32_e32 v3, vcc_lo, 0, v3, vcc_lo
	s_delay_alu instid0(VALU_DEP_2) | instskip(NEXT) | instid1(VALU_DEP_2)
	v_add_co_u32 v8, vcc_lo, v2, v10
	v_add_co_ci_u32_e32 v3, vcc_lo, 0, v3, vcc_lo
	s_delay_alu instid0(VALU_DEP_2) | instskip(NEXT) | instid1(VALU_DEP_2)
	v_add_co_u32 v2, vcc_lo, v8, 0
	v_add_co_ci_u32_e32 v3, vcc_lo, v3, v9, vcc_lo
.LBB109_10:                             ;   in Loop: Header=BB109_2 Depth=1
	s_or_b32 exec_lo, exec_lo, s13
	ds_swizzle_b32 v10, v7 offset:swizzle(BROADCAST,32,15)
	ds_swizzle_b32 v9, v1 offset:swizzle(BROADCAST,32,15)
	;; [unrolled: 1-line block ×4, first 2 shown]
	s_and_saveexec_b32 s13, s4
	s_cbranch_execz .LBB109_1
; %bb.11:                               ;   in Loop: Header=BB109_2 Depth=1
	s_waitcnt lgkmcnt(3)
	v_add_co_u32 v0, vcc_lo, v0, v10
	v_add_co_ci_u32_e32 v1, vcc_lo, 0, v1, vcc_lo
	v_add_co_ci_u32_e32 v2, vcc_lo, 0, v2, vcc_lo
	;; [unrolled: 1-line block ×3, first 2 shown]
	s_delay_alu instid0(VALU_DEP_4)
	v_add_co_u32 v0, vcc_lo, v0, 0
	s_waitcnt lgkmcnt(2)
	v_add_co_ci_u32_e32 v1, vcc_lo, v1, v9, vcc_lo
	v_add_co_ci_u32_e32 v2, vcc_lo, 0, v2, vcc_lo
	;; [unrolled: 1-line block ×3, first 2 shown]
	s_waitcnt lgkmcnt(1)
	s_delay_alu instid0(VALU_DEP_2) | instskip(NEXT) | instid1(VALU_DEP_2)
	v_add_co_u32 v2, vcc_lo, v2, v8
	v_add_co_ci_u32_e32 v3, vcc_lo, 0, v3, vcc_lo
	s_delay_alu instid0(VALU_DEP_2) | instskip(SKIP_1) | instid1(VALU_DEP_2)
	v_add_co_u32 v2, vcc_lo, v2, 0
	s_waitcnt lgkmcnt(0)
	v_add_co_ci_u32_e32 v3, vcc_lo, v3, v7, vcc_lo
	s_branch .LBB109_1
.LBB109_12:
	v_add_co_u32 v4, vcc_lo, s6, v4
	v_add_co_ci_u32_e32 v5, vcc_lo, s7, v5, vcc_lo
	global_store_b128 v[4:5], v[0:3], off
	s_nop 0
	s_sendmsg sendmsg(MSG_DEALLOC_VGPRS)
	s_endpgm
	.section	.rodata,"a",@progbits
	.p2align	6, 0x0
	.amdhsa_kernel _Z6kernelI14exclusive_scannLj32ELj100EEvPKT0_PS1_S1_
		.amdhsa_group_segment_fixed_size 0
		.amdhsa_private_segment_fixed_size 0
		.amdhsa_kernarg_size 288
		.amdhsa_user_sgpr_count 15
		.amdhsa_user_sgpr_dispatch_ptr 0
		.amdhsa_user_sgpr_queue_ptr 0
		.amdhsa_user_sgpr_kernarg_segment_ptr 1
		.amdhsa_user_sgpr_dispatch_id 0
		.amdhsa_user_sgpr_private_segment_size 0
		.amdhsa_wavefront_size32 1
		.amdhsa_uses_dynamic_stack 0
		.amdhsa_enable_private_segment 0
		.amdhsa_system_sgpr_workgroup_id_x 1
		.amdhsa_system_sgpr_workgroup_id_y 0
		.amdhsa_system_sgpr_workgroup_id_z 0
		.amdhsa_system_sgpr_workgroup_info 0
		.amdhsa_system_vgpr_workitem_id 0
		.amdhsa_next_free_vgpr 13
		.amdhsa_next_free_sgpr 16
		.amdhsa_reserve_vcc 1
		.amdhsa_float_round_mode_32 0
		.amdhsa_float_round_mode_16_64 0
		.amdhsa_float_denorm_mode_32 3
		.amdhsa_float_denorm_mode_16_64 3
		.amdhsa_dx10_clamp 1
		.amdhsa_ieee_mode 1
		.amdhsa_fp16_overflow 0
		.amdhsa_workgroup_processor_mode 1
		.amdhsa_memory_ordered 1
		.amdhsa_forward_progress 0
		.amdhsa_shared_vgpr_count 0
		.amdhsa_exception_fp_ieee_invalid_op 0
		.amdhsa_exception_fp_denorm_src 0
		.amdhsa_exception_fp_ieee_div_zero 0
		.amdhsa_exception_fp_ieee_overflow 0
		.amdhsa_exception_fp_ieee_underflow 0
		.amdhsa_exception_fp_ieee_inexact 0
		.amdhsa_exception_int_div_zero 0
	.end_amdhsa_kernel
	.section	.text._Z6kernelI14exclusive_scannLj32ELj100EEvPKT0_PS1_S1_,"axG",@progbits,_Z6kernelI14exclusive_scannLj32ELj100EEvPKT0_PS1_S1_,comdat
.Lfunc_end109:
	.size	_Z6kernelI14exclusive_scannLj32ELj100EEvPKT0_PS1_S1_, .Lfunc_end109-_Z6kernelI14exclusive_scannLj32ELj100EEvPKT0_PS1_S1_
                                        ; -- End function
	.section	.AMDGPU.csdata,"",@progbits
; Kernel info:
; codeLenInByte = 976
; NumSgprs: 18
; NumVgprs: 13
; ScratchSize: 0
; MemoryBound: 0
; FloatMode: 240
; IeeeMode: 1
; LDSByteSize: 0 bytes/workgroup (compile time only)
; SGPRBlocks: 2
; VGPRBlocks: 1
; NumSGPRsForWavesPerEU: 18
; NumVGPRsForWavesPerEU: 13
; Occupancy: 16
; WaveLimiterHint : 0
; COMPUTE_PGM_RSRC2:SCRATCH_EN: 0
; COMPUTE_PGM_RSRC2:USER_SGPR: 15
; COMPUTE_PGM_RSRC2:TRAP_HANDLER: 0
; COMPUTE_PGM_RSRC2:TGID_X_EN: 1
; COMPUTE_PGM_RSRC2:TGID_Y_EN: 0
; COMPUTE_PGM_RSRC2:TGID_Z_EN: 0
; COMPUTE_PGM_RSRC2:TIDIG_COMP_CNT: 0
	.section	.text._Z6kernelI14exclusive_scannLj16ELj100EEvPKT0_PS1_S1_,"axG",@progbits,_Z6kernelI14exclusive_scannLj16ELj100EEvPKT0_PS1_S1_,comdat
	.protected	_Z6kernelI14exclusive_scannLj16ELj100EEvPKT0_PS1_S1_ ; -- Begin function _Z6kernelI14exclusive_scannLj16ELj100EEvPKT0_PS1_S1_
	.globl	_Z6kernelI14exclusive_scannLj16ELj100EEvPKT0_PS1_S1_
	.p2align	8
	.type	_Z6kernelI14exclusive_scannLj16ELj100EEvPKT0_PS1_S1_,@function
_Z6kernelI14exclusive_scannLj16ELj100EEvPKT0_PS1_S1_: ; @_Z6kernelI14exclusive_scannLj16ELj100EEvPKT0_PS1_S1_
; %bb.0:
	s_clause 0x1
	s_load_b32 s2, s[0:1], 0x2c
	s_load_b256 s[4:11], s[0:1], 0x0
	v_mbcnt_lo_u32_b32 v6, -1, 0
	s_delay_alu instid0(VALU_DEP_1) | instskip(SKIP_2) | instid1(VALU_DEP_1)
	v_add_nc_u32_e32 v8, -1, v6
	v_and_b32_e32 v9, 16, v6
	v_and_b32_e32 v7, 15, v6
	v_cmp_ne_u32_e64 s1, 0, v7
	v_cmp_lt_u32_e64 s3, 3, v7
	s_waitcnt lgkmcnt(0)
	s_and_b32 s0, s2, 0xffff
	v_cmp_lt_u32_e64 s2, 1, v7
	v_mad_u64_u32 v[1:2], null, s15, s0, v[0:1]
	v_mov_b32_e32 v2, 0
	v_cmp_eq_u32_e64 s0, 0, v7
	s_delay_alu instid0(VALU_DEP_2) | instskip(NEXT) | instid1(VALU_DEP_1)
	v_lshlrev_b64 v[4:5], 4, v[1:2]
	v_add_co_u32 v0, vcc_lo, s4, v4
	s_delay_alu instid0(VALU_DEP_2)
	v_add_co_ci_u32_e32 v1, vcc_lo, s5, v5, vcc_lo
	v_cmp_lt_i32_e32 vcc_lo, v8, v9
	v_cmp_lt_u32_e64 s4, 7, v7
	s_movk_i32 s5, 0x64
	global_load_b128 v[0:3], v[0:1], off
	v_cndmask_b32_e32 v6, v8, v6, vcc_lo
	s_delay_alu instid0(VALU_DEP_1)
	v_lshlrev_b32_e32 v6, 2, v6
	s_branch .LBB110_2
.LBB110_1:                              ;   in Loop: Header=BB110_2 Depth=1
	s_or_b32 exec_lo, exec_lo, s12
	v_add_co_u32 v0, vcc_lo, v0, s8
	v_add_co_ci_u32_e32 v1, vcc_lo, s9, v1, vcc_lo
	v_add_co_ci_u32_e32 v2, vcc_lo, s10, v2, vcc_lo
	;; [unrolled: 1-line block ×3, first 2 shown]
	ds_bpermute_b32 v0, v6, v0
	ds_bpermute_b32 v1, v6, v1
	ds_bpermute_b32 v2, v6, v2
	ds_bpermute_b32 v3, v6, v3
	s_add_i32 s5, s5, -1
	s_delay_alu instid0(SALU_CYCLE_1)
	s_cmp_lg_u32 s5, 0
	s_waitcnt lgkmcnt(3)
	v_cndmask_b32_e64 v0, v0, s8, s0
	s_waitcnt lgkmcnt(2)
	v_cndmask_b32_e64 v1, v1, s9, s0
	;; [unrolled: 2-line block ×4, first 2 shown]
	s_cbranch_scc0 .LBB110_10
.LBB110_2:                              ; =>This Inner Loop Header: Depth=1
	s_waitcnt vmcnt(0)
	v_mov_b32_dpp v12, v0 row_shr:1 row_mask:0xf bank_mask:0xf
	v_mov_b32_dpp v11, v1 row_shr:1 row_mask:0xf bank_mask:0xf
	;; [unrolled: 1-line block ×4, first 2 shown]
	v_dual_mov_b32 v8, v2 :: v_dual_mov_b32 v7, v0
	s_and_saveexec_b32 s12, s1
	s_cbranch_execz .LBB110_4
; %bb.3:                                ;   in Loop: Header=BB110_2 Depth=1
	v_add_co_u32 v7, vcc_lo, v0, v12
	v_add_co_ci_u32_e32 v1, vcc_lo, 0, v1, vcc_lo
	v_add_co_ci_u32_e32 v2, vcc_lo, 0, v2, vcc_lo
	;; [unrolled: 1-line block ×3, first 2 shown]
	s_delay_alu instid0(VALU_DEP_4) | instskip(NEXT) | instid1(VALU_DEP_4)
	v_add_co_u32 v0, vcc_lo, 0, v7
	v_add_co_ci_u32_e32 v1, vcc_lo, v11, v1, vcc_lo
	s_delay_alu instid0(VALU_DEP_4) | instskip(NEXT) | instid1(VALU_DEP_4)
	v_add_co_ci_u32_e32 v2, vcc_lo, 0, v2, vcc_lo
	v_add_co_ci_u32_e32 v3, vcc_lo, 0, v3, vcc_lo
	s_delay_alu instid0(VALU_DEP_2) | instskip(NEXT) | instid1(VALU_DEP_2)
	v_add_co_u32 v8, vcc_lo, v2, v10
	v_add_co_ci_u32_e32 v3, vcc_lo, 0, v3, vcc_lo
	s_delay_alu instid0(VALU_DEP_2) | instskip(NEXT) | instid1(VALU_DEP_2)
	v_add_co_u32 v2, vcc_lo, v8, 0
	v_add_co_ci_u32_e32 v3, vcc_lo, v3, v9, vcc_lo
.LBB110_4:                              ;   in Loop: Header=BB110_2 Depth=1
	s_or_b32 exec_lo, exec_lo, s12
	s_delay_alu instid0(VALU_DEP_1)
	v_mov_b32_dpp v12, v7 row_shr:2 row_mask:0xf bank_mask:0xf
	v_mov_b32_dpp v11, v1 row_shr:2 row_mask:0xf bank_mask:0xf
	;; [unrolled: 1-line block ×4, first 2 shown]
	s_and_saveexec_b32 s12, s2
	s_cbranch_execz .LBB110_6
; %bb.5:                                ;   in Loop: Header=BB110_2 Depth=1
	v_add_co_u32 v7, vcc_lo, v0, v12
	v_add_co_ci_u32_e32 v1, vcc_lo, 0, v1, vcc_lo
	v_add_co_ci_u32_e32 v2, vcc_lo, 0, v2, vcc_lo
	;; [unrolled: 1-line block ×3, first 2 shown]
	s_delay_alu instid0(VALU_DEP_4) | instskip(NEXT) | instid1(VALU_DEP_4)
	v_add_co_u32 v0, vcc_lo, 0, v7
	v_add_co_ci_u32_e32 v1, vcc_lo, v11, v1, vcc_lo
	s_delay_alu instid0(VALU_DEP_4) | instskip(NEXT) | instid1(VALU_DEP_4)
	v_add_co_ci_u32_e32 v2, vcc_lo, 0, v2, vcc_lo
	v_add_co_ci_u32_e32 v3, vcc_lo, 0, v3, vcc_lo
	s_delay_alu instid0(VALU_DEP_2) | instskip(NEXT) | instid1(VALU_DEP_2)
	v_add_co_u32 v8, vcc_lo, v2, v10
	v_add_co_ci_u32_e32 v3, vcc_lo, 0, v3, vcc_lo
	s_delay_alu instid0(VALU_DEP_2) | instskip(NEXT) | instid1(VALU_DEP_2)
	v_add_co_u32 v2, vcc_lo, v8, 0
	v_add_co_ci_u32_e32 v3, vcc_lo, v3, v9, vcc_lo
.LBB110_6:                              ;   in Loop: Header=BB110_2 Depth=1
	s_or_b32 exec_lo, exec_lo, s12
	v_mov_b32_dpp v12, v7 row_shr:4 row_mask:0xf bank_mask:0xf
	v_mov_b32_dpp v11, v1 row_shr:4 row_mask:0xf bank_mask:0xf
	;; [unrolled: 1-line block ×4, first 2 shown]
	s_and_saveexec_b32 s12, s3
	s_cbranch_execz .LBB110_8
; %bb.7:                                ;   in Loop: Header=BB110_2 Depth=1
	v_add_co_u32 v7, vcc_lo, v0, v12
	v_add_co_ci_u32_e32 v1, vcc_lo, 0, v1, vcc_lo
	v_add_co_ci_u32_e32 v2, vcc_lo, 0, v2, vcc_lo
	;; [unrolled: 1-line block ×3, first 2 shown]
	s_delay_alu instid0(VALU_DEP_4) | instskip(NEXT) | instid1(VALU_DEP_4)
	v_add_co_u32 v0, vcc_lo, 0, v7
	v_add_co_ci_u32_e32 v1, vcc_lo, v11, v1, vcc_lo
	s_delay_alu instid0(VALU_DEP_4) | instskip(NEXT) | instid1(VALU_DEP_4)
	v_add_co_ci_u32_e32 v2, vcc_lo, 0, v2, vcc_lo
	v_add_co_ci_u32_e32 v3, vcc_lo, 0, v3, vcc_lo
	s_delay_alu instid0(VALU_DEP_2) | instskip(NEXT) | instid1(VALU_DEP_2)
	v_add_co_u32 v8, vcc_lo, v2, v10
	v_add_co_ci_u32_e32 v3, vcc_lo, 0, v3, vcc_lo
	s_delay_alu instid0(VALU_DEP_2) | instskip(NEXT) | instid1(VALU_DEP_2)
	v_add_co_u32 v2, vcc_lo, v8, 0
	v_add_co_ci_u32_e32 v3, vcc_lo, v3, v9, vcc_lo
.LBB110_8:                              ;   in Loop: Header=BB110_2 Depth=1
	s_or_b32 exec_lo, exec_lo, s12
	v_mov_b32_dpp v10, v7 row_shr:8 row_mask:0xf bank_mask:0xf
	v_mov_b32_dpp v9, v1 row_shr:8 row_mask:0xf bank_mask:0xf
	;; [unrolled: 1-line block ×4, first 2 shown]
	s_and_saveexec_b32 s12, s4
	s_cbranch_execz .LBB110_1
; %bb.9:                                ;   in Loop: Header=BB110_2 Depth=1
	v_add_co_u32 v0, vcc_lo, v0, v10
	v_add_co_ci_u32_e32 v1, vcc_lo, 0, v1, vcc_lo
	v_add_co_ci_u32_e32 v2, vcc_lo, 0, v2, vcc_lo
	;; [unrolled: 1-line block ×3, first 2 shown]
	s_delay_alu instid0(VALU_DEP_4) | instskip(NEXT) | instid1(VALU_DEP_4)
	v_add_co_u32 v0, vcc_lo, v0, 0
	v_add_co_ci_u32_e32 v1, vcc_lo, v1, v9, vcc_lo
	s_delay_alu instid0(VALU_DEP_4) | instskip(NEXT) | instid1(VALU_DEP_4)
	v_add_co_ci_u32_e32 v2, vcc_lo, 0, v2, vcc_lo
	v_add_co_ci_u32_e32 v3, vcc_lo, 0, v3, vcc_lo
	s_delay_alu instid0(VALU_DEP_2) | instskip(NEXT) | instid1(VALU_DEP_2)
	v_add_co_u32 v2, vcc_lo, v2, v8
	v_add_co_ci_u32_e32 v3, vcc_lo, 0, v3, vcc_lo
	s_delay_alu instid0(VALU_DEP_2) | instskip(NEXT) | instid1(VALU_DEP_2)
	v_add_co_u32 v2, vcc_lo, v2, 0
	v_add_co_ci_u32_e32 v3, vcc_lo, v3, v7, vcc_lo
	s_branch .LBB110_1
.LBB110_10:
	v_add_co_u32 v4, vcc_lo, s6, v4
	v_add_co_ci_u32_e32 v5, vcc_lo, s7, v5, vcc_lo
	global_store_b128 v[4:5], v[0:3], off
	s_nop 0
	s_sendmsg sendmsg(MSG_DEALLOC_VGPRS)
	s_endpgm
	.section	.rodata,"a",@progbits
	.p2align	6, 0x0
	.amdhsa_kernel _Z6kernelI14exclusive_scannLj16ELj100EEvPKT0_PS1_S1_
		.amdhsa_group_segment_fixed_size 0
		.amdhsa_private_segment_fixed_size 0
		.amdhsa_kernarg_size 288
		.amdhsa_user_sgpr_count 15
		.amdhsa_user_sgpr_dispatch_ptr 0
		.amdhsa_user_sgpr_queue_ptr 0
		.amdhsa_user_sgpr_kernarg_segment_ptr 1
		.amdhsa_user_sgpr_dispatch_id 0
		.amdhsa_user_sgpr_private_segment_size 0
		.amdhsa_wavefront_size32 1
		.amdhsa_uses_dynamic_stack 0
		.amdhsa_enable_private_segment 0
		.amdhsa_system_sgpr_workgroup_id_x 1
		.amdhsa_system_sgpr_workgroup_id_y 0
		.amdhsa_system_sgpr_workgroup_id_z 0
		.amdhsa_system_sgpr_workgroup_info 0
		.amdhsa_system_vgpr_workitem_id 0
		.amdhsa_next_free_vgpr 13
		.amdhsa_next_free_sgpr 16
		.amdhsa_reserve_vcc 1
		.amdhsa_float_round_mode_32 0
		.amdhsa_float_round_mode_16_64 0
		.amdhsa_float_denorm_mode_32 3
		.amdhsa_float_denorm_mode_16_64 3
		.amdhsa_dx10_clamp 1
		.amdhsa_ieee_mode 1
		.amdhsa_fp16_overflow 0
		.amdhsa_workgroup_processor_mode 1
		.amdhsa_memory_ordered 1
		.amdhsa_forward_progress 0
		.amdhsa_shared_vgpr_count 0
		.amdhsa_exception_fp_ieee_invalid_op 0
		.amdhsa_exception_fp_denorm_src 0
		.amdhsa_exception_fp_ieee_div_zero 0
		.amdhsa_exception_fp_ieee_overflow 0
		.amdhsa_exception_fp_ieee_underflow 0
		.amdhsa_exception_fp_ieee_inexact 0
		.amdhsa_exception_int_div_zero 0
	.end_amdhsa_kernel
	.section	.text._Z6kernelI14exclusive_scannLj16ELj100EEvPKT0_PS1_S1_,"axG",@progbits,_Z6kernelI14exclusive_scannLj16ELj100EEvPKT0_PS1_S1_,comdat
.Lfunc_end110:
	.size	_Z6kernelI14exclusive_scannLj16ELj100EEvPKT0_PS1_S1_, .Lfunc_end110-_Z6kernelI14exclusive_scannLj16ELj100EEvPKT0_PS1_S1_
                                        ; -- End function
	.section	.AMDGPU.csdata,"",@progbits
; Kernel info:
; codeLenInByte = 832
; NumSgprs: 18
; NumVgprs: 13
; ScratchSize: 0
; MemoryBound: 0
; FloatMode: 240
; IeeeMode: 1
; LDSByteSize: 0 bytes/workgroup (compile time only)
; SGPRBlocks: 2
; VGPRBlocks: 1
; NumSGPRsForWavesPerEU: 18
; NumVGPRsForWavesPerEU: 13
; Occupancy: 16
; WaveLimiterHint : 0
; COMPUTE_PGM_RSRC2:SCRATCH_EN: 0
; COMPUTE_PGM_RSRC2:USER_SGPR: 15
; COMPUTE_PGM_RSRC2:TRAP_HANDLER: 0
; COMPUTE_PGM_RSRC2:TGID_X_EN: 1
; COMPUTE_PGM_RSRC2:TGID_Y_EN: 0
; COMPUTE_PGM_RSRC2:TGID_Z_EN: 0
; COMPUTE_PGM_RSRC2:TIDIG_COMP_CNT: 0
	.section	.text._Z6kernelI14exclusive_scannLj63ELj100EEvPKT0_PS1_S1_,"axG",@progbits,_Z6kernelI14exclusive_scannLj63ELj100EEvPKT0_PS1_S1_,comdat
	.protected	_Z6kernelI14exclusive_scannLj63ELj100EEvPKT0_PS1_S1_ ; -- Begin function _Z6kernelI14exclusive_scannLj63ELj100EEvPKT0_PS1_S1_
	.globl	_Z6kernelI14exclusive_scannLj63ELj100EEvPKT0_PS1_S1_
	.p2align	8
	.type	_Z6kernelI14exclusive_scannLj63ELj100EEvPKT0_PS1_S1_,@function
_Z6kernelI14exclusive_scannLj63ELj100EEvPKT0_PS1_S1_: ; @_Z6kernelI14exclusive_scannLj63ELj100EEvPKT0_PS1_S1_
; %bb.0:
	s_clause 0x1
	s_load_b32 s4, s[0:1], 0x2c
	s_load_b128 s[0:3], s[0:1], 0x0
	s_waitcnt lgkmcnt(0)
	s_and_b32 s4, s4, 0xffff
	s_delay_alu instid0(SALU_CYCLE_1) | instskip(SKIP_1) | instid1(VALU_DEP_1)
	v_mad_u64_u32 v[1:2], null, s15, s4, v[0:1]
	v_mov_b32_e32 v2, 0
	v_lshlrev_b64 v[4:5], 4, v[1:2]
	s_delay_alu instid0(VALU_DEP_1) | instskip(NEXT) | instid1(VALU_DEP_2)
	v_add_co_u32 v0, vcc_lo, s0, v4
	v_add_co_ci_u32_e32 v1, vcc_lo, s1, v5, vcc_lo
	v_add_co_u32 v4, vcc_lo, s2, v4
	v_add_co_ci_u32_e32 v5, vcc_lo, s3, v5, vcc_lo
	global_load_b128 v[0:3], v[0:1], off
	s_waitcnt vmcnt(0)
	global_store_b128 v[4:5], v[0:3], off
	s_nop 0
	s_sendmsg sendmsg(MSG_DEALLOC_VGPRS)
	s_endpgm
	.section	.rodata,"a",@progbits
	.p2align	6, 0x0
	.amdhsa_kernel _Z6kernelI14exclusive_scannLj63ELj100EEvPKT0_PS1_S1_
		.amdhsa_group_segment_fixed_size 0
		.amdhsa_private_segment_fixed_size 0
		.amdhsa_kernarg_size 288
		.amdhsa_user_sgpr_count 15
		.amdhsa_user_sgpr_dispatch_ptr 0
		.amdhsa_user_sgpr_queue_ptr 0
		.amdhsa_user_sgpr_kernarg_segment_ptr 1
		.amdhsa_user_sgpr_dispatch_id 0
		.amdhsa_user_sgpr_private_segment_size 0
		.amdhsa_wavefront_size32 1
		.amdhsa_uses_dynamic_stack 0
		.amdhsa_enable_private_segment 0
		.amdhsa_system_sgpr_workgroup_id_x 1
		.amdhsa_system_sgpr_workgroup_id_y 0
		.amdhsa_system_sgpr_workgroup_id_z 0
		.amdhsa_system_sgpr_workgroup_info 0
		.amdhsa_system_vgpr_workitem_id 0
		.amdhsa_next_free_vgpr 6
		.amdhsa_next_free_sgpr 16
		.amdhsa_reserve_vcc 1
		.amdhsa_float_round_mode_32 0
		.amdhsa_float_round_mode_16_64 0
		.amdhsa_float_denorm_mode_32 3
		.amdhsa_float_denorm_mode_16_64 3
		.amdhsa_dx10_clamp 1
		.amdhsa_ieee_mode 1
		.amdhsa_fp16_overflow 0
		.amdhsa_workgroup_processor_mode 1
		.amdhsa_memory_ordered 1
		.amdhsa_forward_progress 0
		.amdhsa_shared_vgpr_count 0
		.amdhsa_exception_fp_ieee_invalid_op 0
		.amdhsa_exception_fp_denorm_src 0
		.amdhsa_exception_fp_ieee_div_zero 0
		.amdhsa_exception_fp_ieee_overflow 0
		.amdhsa_exception_fp_ieee_underflow 0
		.amdhsa_exception_fp_ieee_inexact 0
		.amdhsa_exception_int_div_zero 0
	.end_amdhsa_kernel
	.section	.text._Z6kernelI14exclusive_scannLj63ELj100EEvPKT0_PS1_S1_,"axG",@progbits,_Z6kernelI14exclusive_scannLj63ELj100EEvPKT0_PS1_S1_,comdat
.Lfunc_end111:
	.size	_Z6kernelI14exclusive_scannLj63ELj100EEvPKT0_PS1_S1_, .Lfunc_end111-_Z6kernelI14exclusive_scannLj63ELj100EEvPKT0_PS1_S1_
                                        ; -- End function
	.section	.AMDGPU.csdata,"",@progbits
; Kernel info:
; codeLenInByte = 116
; NumSgprs: 18
; NumVgprs: 6
; ScratchSize: 0
; MemoryBound: 0
; FloatMode: 240
; IeeeMode: 1
; LDSByteSize: 0 bytes/workgroup (compile time only)
; SGPRBlocks: 2
; VGPRBlocks: 0
; NumSGPRsForWavesPerEU: 18
; NumVGPRsForWavesPerEU: 6
; Occupancy: 16
; WaveLimiterHint : 0
; COMPUTE_PGM_RSRC2:SCRATCH_EN: 0
; COMPUTE_PGM_RSRC2:USER_SGPR: 15
; COMPUTE_PGM_RSRC2:TRAP_HANDLER: 0
; COMPUTE_PGM_RSRC2:TGID_X_EN: 1
; COMPUTE_PGM_RSRC2:TGID_Y_EN: 0
; COMPUTE_PGM_RSRC2:TGID_Z_EN: 0
; COMPUTE_PGM_RSRC2:TIDIG_COMP_CNT: 0
	.section	.text._Z6kernelI14exclusive_scannLj31ELj100EEvPKT0_PS1_S1_,"axG",@progbits,_Z6kernelI14exclusive_scannLj31ELj100EEvPKT0_PS1_S1_,comdat
	.protected	_Z6kernelI14exclusive_scannLj31ELj100EEvPKT0_PS1_S1_ ; -- Begin function _Z6kernelI14exclusive_scannLj31ELj100EEvPKT0_PS1_S1_
	.globl	_Z6kernelI14exclusive_scannLj31ELj100EEvPKT0_PS1_S1_
	.p2align	8
	.type	_Z6kernelI14exclusive_scannLj31ELj100EEvPKT0_PS1_S1_,@function
_Z6kernelI14exclusive_scannLj31ELj100EEvPKT0_PS1_S1_: ; @_Z6kernelI14exclusive_scannLj31ELj100EEvPKT0_PS1_S1_
; %bb.0:
	s_clause 0x1
	s_load_b32 s2, s[0:1], 0x2c
	s_load_b256 s[4:11], s[0:1], 0x0
	v_mbcnt_lo_u32_b32 v6, -1, 0
	s_delay_alu instid0(VALU_DEP_1) | instskip(NEXT) | instid1(VALU_DEP_1)
	v_mul_hi_u32 v7, 0x8421085, v6
	v_mul_u32_u24_e32 v7, 31, v7
	s_delay_alu instid0(VALU_DEP_1) | instskip(SKIP_2) | instid1(SALU_CYCLE_1)
	v_sub_nc_u32_e32 v7, v6, v7
	s_waitcnt lgkmcnt(0)
	s_and_b32 s0, s2, 0xffff
	v_mad_u64_u32 v[1:2], null, s15, s0, v[0:1]
	s_delay_alu instid0(VALU_DEP_2)
	v_lshlrev_b32_e32 v6, 4, v7
	v_mov_b32_e32 v2, 0
	v_cmp_ne_u32_e64 s0, 0, v7
	v_cmp_lt_u32_e64 s1, 1, v7
	v_cmp_lt_u32_e64 s2, 3, v7
	;; [unrolled: 1-line block ×3, first 2 shown]
	v_lshlrev_b64 v[4:5], 4, v[1:2]
	v_subrev_nc_u32_e32 v8, 32, v6
	v_subrev_nc_u32_e32 v9, 64, v6
	v_add_nc_u32_e32 v10, 0xffffff80, v6
	v_add_nc_u32_e32 v11, 0xffffff00, v6
	v_add_co_u32 v0, vcc_lo, s4, v4
	v_add_co_ci_u32_e32 v1, vcc_lo, s5, v5, vcc_lo
	v_cmp_lt_u32_e64 s4, 15, v7
	v_add_nc_u32_e32 v7, -16, v6
	s_movk_i32 s5, 0x64
	global_load_b128 v[0:3], v[0:1], off
	s_branch .LBB112_2
.LBB112_1:                              ;   in Loop: Header=BB112_2 Depth=1
	s_or_b32 exec_lo, exec_lo, s12
	s_add_i32 s5, s5, -1
	s_delay_alu instid0(SALU_CYCLE_1)
	s_cmp_lg_u32 s5, 0
	s_cbranch_scc0 .LBB112_24
.LBB112_2:                              ; =>This Inner Loop Header: Depth=1
	s_waitcnt vmcnt(0)
	ds_store_b128 v6, v[0:3]
	; wave barrier
	s_and_saveexec_b32 s12, s0
	s_cbranch_execz .LBB112_4
; %bb.3:                                ;   in Loop: Header=BB112_2 Depth=1
	ds_load_b128 v[12:15], v7
	s_waitcnt lgkmcnt(0)
	v_add_co_u32 v0, vcc_lo, v12, v0
	v_add_co_ci_u32_e32 v1, vcc_lo, v13, v1, vcc_lo
	v_add_co_ci_u32_e32 v2, vcc_lo, v14, v2, vcc_lo
	;; [unrolled: 1-line block ×3, first 2 shown]
.LBB112_4:                              ;   in Loop: Header=BB112_2 Depth=1
	s_or_b32 exec_lo, exec_lo, s12
	; wave barrier
	s_and_saveexec_b32 s12, s0
	s_cbranch_execz .LBB112_6
; %bb.5:                                ;   in Loop: Header=BB112_2 Depth=1
	ds_store_b128 v6, v[0:3]
.LBB112_6:                              ;   in Loop: Header=BB112_2 Depth=1
	s_or_b32 exec_lo, exec_lo, s12
	; wave barrier
	s_and_saveexec_b32 s12, s1
	s_cbranch_execz .LBB112_8
; %bb.7:                                ;   in Loop: Header=BB112_2 Depth=1
	ds_load_b128 v[12:15], v8
	s_waitcnt lgkmcnt(0)
	v_add_co_u32 v0, vcc_lo, v12, v0
	v_add_co_ci_u32_e32 v1, vcc_lo, v13, v1, vcc_lo
	v_add_co_ci_u32_e32 v2, vcc_lo, v14, v2, vcc_lo
	;; [unrolled: 1-line block ×3, first 2 shown]
.LBB112_8:                              ;   in Loop: Header=BB112_2 Depth=1
	s_or_b32 exec_lo, exec_lo, s12
	; wave barrier
	s_and_saveexec_b32 s12, s1
	s_cbranch_execz .LBB112_10
; %bb.9:                                ;   in Loop: Header=BB112_2 Depth=1
	ds_store_b128 v6, v[0:3]
.LBB112_10:                             ;   in Loop: Header=BB112_2 Depth=1
	s_or_b32 exec_lo, exec_lo, s12
	; wave barrier
	s_and_saveexec_b32 s12, s2
	s_cbranch_execz .LBB112_12
; %bb.11:                               ;   in Loop: Header=BB112_2 Depth=1
	ds_load_b128 v[12:15], v9
	s_waitcnt lgkmcnt(0)
	v_add_co_u32 v0, vcc_lo, v12, v0
	v_add_co_ci_u32_e32 v1, vcc_lo, v13, v1, vcc_lo
	v_add_co_ci_u32_e32 v2, vcc_lo, v14, v2, vcc_lo
	v_add_co_ci_u32_e32 v3, vcc_lo, v15, v3, vcc_lo
.LBB112_12:                             ;   in Loop: Header=BB112_2 Depth=1
	s_or_b32 exec_lo, exec_lo, s12
	; wave barrier
	s_and_saveexec_b32 s12, s2
	s_cbranch_execz .LBB112_14
; %bb.13:                               ;   in Loop: Header=BB112_2 Depth=1
	ds_store_b128 v6, v[0:3]
.LBB112_14:                             ;   in Loop: Header=BB112_2 Depth=1
	s_or_b32 exec_lo, exec_lo, s12
	; wave barrier
	s_and_saveexec_b32 s12, s3
	s_cbranch_execz .LBB112_16
; %bb.15:                               ;   in Loop: Header=BB112_2 Depth=1
	ds_load_b128 v[12:15], v10
	s_waitcnt lgkmcnt(0)
	v_add_co_u32 v0, vcc_lo, v12, v0
	v_add_co_ci_u32_e32 v1, vcc_lo, v13, v1, vcc_lo
	v_add_co_ci_u32_e32 v2, vcc_lo, v14, v2, vcc_lo
	v_add_co_ci_u32_e32 v3, vcc_lo, v15, v3, vcc_lo
.LBB112_16:                             ;   in Loop: Header=BB112_2 Depth=1
	s_or_b32 exec_lo, exec_lo, s12
	; wave barrier
	s_and_saveexec_b32 s12, s3
	s_cbranch_execz .LBB112_18
; %bb.17:                               ;   in Loop: Header=BB112_2 Depth=1
	ds_store_b128 v6, v[0:3]
.LBB112_18:                             ;   in Loop: Header=BB112_2 Depth=1
	;; [unrolled: 19-line block ×3, first 2 shown]
	s_or_b32 exec_lo, exec_lo, s12
	v_dual_mov_b32 v0, s8 :: v_dual_mov_b32 v1, s9
	v_dual_mov_b32 v2, s10 :: v_dual_mov_b32 v3, s11
	; wave barrier
	s_and_saveexec_b32 s12, s0
	s_cbranch_execz .LBB112_1
; %bb.23:                               ;   in Loop: Header=BB112_2 Depth=1
	ds_load_b128 v[0:3], v7
	s_waitcnt lgkmcnt(0)
	v_add_co_u32 v0, vcc_lo, v0, s8
	v_add_co_ci_u32_e32 v1, vcc_lo, s9, v1, vcc_lo
	v_add_co_ci_u32_e32 v2, vcc_lo, s10, v2, vcc_lo
	;; [unrolled: 1-line block ×3, first 2 shown]
	s_branch .LBB112_1
.LBB112_24:
	v_add_co_u32 v4, vcc_lo, s6, v4
	v_add_co_ci_u32_e32 v5, vcc_lo, s7, v5, vcc_lo
	global_store_b128 v[4:5], v[0:3], off
	s_nop 0
	s_sendmsg sendmsg(MSG_DEALLOC_VGPRS)
	s_endpgm
	.section	.rodata,"a",@progbits
	.p2align	6, 0x0
	.amdhsa_kernel _Z6kernelI14exclusive_scannLj31ELj100EEvPKT0_PS1_S1_
		.amdhsa_group_segment_fixed_size 496
		.amdhsa_private_segment_fixed_size 0
		.amdhsa_kernarg_size 288
		.amdhsa_user_sgpr_count 15
		.amdhsa_user_sgpr_dispatch_ptr 0
		.amdhsa_user_sgpr_queue_ptr 0
		.amdhsa_user_sgpr_kernarg_segment_ptr 1
		.amdhsa_user_sgpr_dispatch_id 0
		.amdhsa_user_sgpr_private_segment_size 0
		.amdhsa_wavefront_size32 1
		.amdhsa_uses_dynamic_stack 0
		.amdhsa_enable_private_segment 0
		.amdhsa_system_sgpr_workgroup_id_x 1
		.amdhsa_system_sgpr_workgroup_id_y 0
		.amdhsa_system_sgpr_workgroup_id_z 0
		.amdhsa_system_sgpr_workgroup_info 0
		.amdhsa_system_vgpr_workitem_id 0
		.amdhsa_next_free_vgpr 16
		.amdhsa_next_free_sgpr 16
		.amdhsa_reserve_vcc 1
		.amdhsa_float_round_mode_32 0
		.amdhsa_float_round_mode_16_64 0
		.amdhsa_float_denorm_mode_32 3
		.amdhsa_float_denorm_mode_16_64 3
		.amdhsa_dx10_clamp 1
		.amdhsa_ieee_mode 1
		.amdhsa_fp16_overflow 0
		.amdhsa_workgroup_processor_mode 1
		.amdhsa_memory_ordered 1
		.amdhsa_forward_progress 0
		.amdhsa_shared_vgpr_count 0
		.amdhsa_exception_fp_ieee_invalid_op 0
		.amdhsa_exception_fp_denorm_src 0
		.amdhsa_exception_fp_ieee_div_zero 0
		.amdhsa_exception_fp_ieee_overflow 0
		.amdhsa_exception_fp_ieee_underflow 0
		.amdhsa_exception_fp_ieee_inexact 0
		.amdhsa_exception_int_div_zero 0
	.end_amdhsa_kernel
	.section	.text._Z6kernelI14exclusive_scannLj31ELj100EEvPKT0_PS1_S1_,"axG",@progbits,_Z6kernelI14exclusive_scannLj31ELj100EEvPKT0_PS1_S1_,comdat
.Lfunc_end112:
	.size	_Z6kernelI14exclusive_scannLj31ELj100EEvPKT0_PS1_S1_, .Lfunc_end112-_Z6kernelI14exclusive_scannLj31ELj100EEvPKT0_PS1_S1_
                                        ; -- End function
	.section	.AMDGPU.csdata,"",@progbits
; Kernel info:
; codeLenInByte = 636
; NumSgprs: 18
; NumVgprs: 16
; ScratchSize: 0
; MemoryBound: 0
; FloatMode: 240
; IeeeMode: 1
; LDSByteSize: 496 bytes/workgroup (compile time only)
; SGPRBlocks: 2
; VGPRBlocks: 1
; NumSGPRsForWavesPerEU: 18
; NumVGPRsForWavesPerEU: 16
; Occupancy: 16
; WaveLimiterHint : 0
; COMPUTE_PGM_RSRC2:SCRATCH_EN: 0
; COMPUTE_PGM_RSRC2:USER_SGPR: 15
; COMPUTE_PGM_RSRC2:TRAP_HANDLER: 0
; COMPUTE_PGM_RSRC2:TGID_X_EN: 1
; COMPUTE_PGM_RSRC2:TGID_Y_EN: 0
; COMPUTE_PGM_RSRC2:TGID_Z_EN: 0
; COMPUTE_PGM_RSRC2:TIDIG_COMP_CNT: 0
	.section	.text._Z6kernelI14exclusive_scannLj15ELj100EEvPKT0_PS1_S1_,"axG",@progbits,_Z6kernelI14exclusive_scannLj15ELj100EEvPKT0_PS1_S1_,comdat
	.protected	_Z6kernelI14exclusive_scannLj15ELj100EEvPKT0_PS1_S1_ ; -- Begin function _Z6kernelI14exclusive_scannLj15ELj100EEvPKT0_PS1_S1_
	.globl	_Z6kernelI14exclusive_scannLj15ELj100EEvPKT0_PS1_S1_
	.p2align	8
	.type	_Z6kernelI14exclusive_scannLj15ELj100EEvPKT0_PS1_S1_,@function
_Z6kernelI14exclusive_scannLj15ELj100EEvPKT0_PS1_S1_: ; @_Z6kernelI14exclusive_scannLj15ELj100EEvPKT0_PS1_S1_
; %bb.0:
	s_clause 0x1
	s_load_b32 s2, s[0:1], 0x2c
	s_load_b256 s[4:11], s[0:1], 0x0
	v_mbcnt_lo_u32_b32 v6, -1, 0
	s_delay_alu instid0(VALU_DEP_1) | instskip(NEXT) | instid1(VALU_DEP_1)
	v_mul_hi_u32 v7, 0x11111112, v6
	v_mul_u32_u24_e32 v7, 15, v7
	s_delay_alu instid0(VALU_DEP_1) | instskip(SKIP_2) | instid1(SALU_CYCLE_1)
	v_sub_nc_u32_e32 v7, v6, v7
	s_waitcnt lgkmcnt(0)
	s_and_b32 s0, s2, 0xffff
	v_mad_u64_u32 v[1:2], null, s15, s0, v[0:1]
	s_delay_alu instid0(VALU_DEP_2)
	v_lshlrev_b32_e32 v6, 4, v7
	v_mov_b32_e32 v2, 0
	v_cmp_ne_u32_e64 s0, 0, v7
	v_cmp_lt_u32_e64 s1, 1, v7
	v_cmp_lt_u32_e64 s2, 3, v7
	;; [unrolled: 1-line block ×3, first 2 shown]
	v_add_nc_u32_e32 v7, -16, v6
	v_lshlrev_b64 v[4:5], 4, v[1:2]
	v_subrev_nc_u32_e32 v8, 32, v6
	v_subrev_nc_u32_e32 v9, 64, v6
	v_add_nc_u32_e32 v10, 0xffffff80, v6
	s_delay_alu instid0(VALU_DEP_4)
	v_add_co_u32 v0, vcc_lo, s4, v4
	v_add_co_ci_u32_e32 v1, vcc_lo, s5, v5, vcc_lo
	s_movk_i32 s4, 0x64
	global_load_b128 v[0:3], v[0:1], off
	s_branch .LBB113_2
.LBB113_1:                              ;   in Loop: Header=BB113_2 Depth=1
	s_or_b32 exec_lo, exec_lo, s5
	s_add_i32 s4, s4, -1
	s_delay_alu instid0(SALU_CYCLE_1)
	s_cmp_lg_u32 s4, 0
	s_cbranch_scc0 .LBB113_20
.LBB113_2:                              ; =>This Inner Loop Header: Depth=1
	s_waitcnt vmcnt(0)
	ds_store_b128 v6, v[0:3]
	; wave barrier
	s_and_saveexec_b32 s5, s0
	s_cbranch_execz .LBB113_4
; %bb.3:                                ;   in Loop: Header=BB113_2 Depth=1
	ds_load_b128 v[11:14], v7
	s_waitcnt lgkmcnt(0)
	v_add_co_u32 v0, vcc_lo, v11, v0
	v_add_co_ci_u32_e32 v1, vcc_lo, v12, v1, vcc_lo
	v_add_co_ci_u32_e32 v2, vcc_lo, v13, v2, vcc_lo
	;; [unrolled: 1-line block ×3, first 2 shown]
.LBB113_4:                              ;   in Loop: Header=BB113_2 Depth=1
	s_or_b32 exec_lo, exec_lo, s5
	; wave barrier
	s_and_saveexec_b32 s5, s0
	s_cbranch_execz .LBB113_6
; %bb.5:                                ;   in Loop: Header=BB113_2 Depth=1
	ds_store_b128 v6, v[0:3]
.LBB113_6:                              ;   in Loop: Header=BB113_2 Depth=1
	s_or_b32 exec_lo, exec_lo, s5
	; wave barrier
	s_and_saveexec_b32 s5, s1
	s_cbranch_execz .LBB113_8
; %bb.7:                                ;   in Loop: Header=BB113_2 Depth=1
	ds_load_b128 v[11:14], v8
	s_waitcnt lgkmcnt(0)
	v_add_co_u32 v0, vcc_lo, v11, v0
	v_add_co_ci_u32_e32 v1, vcc_lo, v12, v1, vcc_lo
	v_add_co_ci_u32_e32 v2, vcc_lo, v13, v2, vcc_lo
	;; [unrolled: 1-line block ×3, first 2 shown]
.LBB113_8:                              ;   in Loop: Header=BB113_2 Depth=1
	s_or_b32 exec_lo, exec_lo, s5
	; wave barrier
	s_and_saveexec_b32 s5, s1
	s_cbranch_execz .LBB113_10
; %bb.9:                                ;   in Loop: Header=BB113_2 Depth=1
	ds_store_b128 v6, v[0:3]
.LBB113_10:                             ;   in Loop: Header=BB113_2 Depth=1
	s_or_b32 exec_lo, exec_lo, s5
	; wave barrier
	s_and_saveexec_b32 s5, s2
	s_cbranch_execz .LBB113_12
; %bb.11:                               ;   in Loop: Header=BB113_2 Depth=1
	ds_load_b128 v[11:14], v9
	s_waitcnt lgkmcnt(0)
	v_add_co_u32 v0, vcc_lo, v11, v0
	v_add_co_ci_u32_e32 v1, vcc_lo, v12, v1, vcc_lo
	v_add_co_ci_u32_e32 v2, vcc_lo, v13, v2, vcc_lo
	;; [unrolled: 1-line block ×3, first 2 shown]
.LBB113_12:                             ;   in Loop: Header=BB113_2 Depth=1
	s_or_b32 exec_lo, exec_lo, s5
	; wave barrier
	s_and_saveexec_b32 s5, s2
	s_cbranch_execz .LBB113_14
; %bb.13:                               ;   in Loop: Header=BB113_2 Depth=1
	ds_store_b128 v6, v[0:3]
.LBB113_14:                             ;   in Loop: Header=BB113_2 Depth=1
	s_or_b32 exec_lo, exec_lo, s5
	; wave barrier
	s_and_saveexec_b32 s5, s3
	s_cbranch_execz .LBB113_16
; %bb.15:                               ;   in Loop: Header=BB113_2 Depth=1
	ds_load_b128 v[11:14], v10
	s_waitcnt lgkmcnt(0)
	v_add_co_u32 v0, vcc_lo, v11, v0
	v_add_co_ci_u32_e32 v1, vcc_lo, v12, v1, vcc_lo
	v_add_co_ci_u32_e32 v2, vcc_lo, v13, v2, vcc_lo
	;; [unrolled: 1-line block ×3, first 2 shown]
.LBB113_16:                             ;   in Loop: Header=BB113_2 Depth=1
	s_or_b32 exec_lo, exec_lo, s5
	; wave barrier
	s_and_saveexec_b32 s5, s3
	s_cbranch_execz .LBB113_18
; %bb.17:                               ;   in Loop: Header=BB113_2 Depth=1
	ds_store_b128 v6, v[0:3]
.LBB113_18:                             ;   in Loop: Header=BB113_2 Depth=1
	s_or_b32 exec_lo, exec_lo, s5
	v_dual_mov_b32 v0, s8 :: v_dual_mov_b32 v1, s9
	v_dual_mov_b32 v2, s10 :: v_dual_mov_b32 v3, s11
	; wave barrier
	s_and_saveexec_b32 s5, s0
	s_cbranch_execz .LBB113_1
; %bb.19:                               ;   in Loop: Header=BB113_2 Depth=1
	ds_load_b128 v[0:3], v7
	s_waitcnt lgkmcnt(0)
	v_add_co_u32 v0, vcc_lo, v0, s8
	v_add_co_ci_u32_e32 v1, vcc_lo, s9, v1, vcc_lo
	v_add_co_ci_u32_e32 v2, vcc_lo, s10, v2, vcc_lo
	;; [unrolled: 1-line block ×3, first 2 shown]
	s_branch .LBB113_1
.LBB113_20:
	v_add_co_u32 v4, vcc_lo, s6, v4
	v_add_co_ci_u32_e32 v5, vcc_lo, s7, v5, vcc_lo
	global_store_b128 v[4:5], v[0:3], off
	s_nop 0
	s_sendmsg sendmsg(MSG_DEALLOC_VGPRS)
	s_endpgm
	.section	.rodata,"a",@progbits
	.p2align	6, 0x0
	.amdhsa_kernel _Z6kernelI14exclusive_scannLj15ELj100EEvPKT0_PS1_S1_
		.amdhsa_group_segment_fixed_size 240
		.amdhsa_private_segment_fixed_size 0
		.amdhsa_kernarg_size 288
		.amdhsa_user_sgpr_count 15
		.amdhsa_user_sgpr_dispatch_ptr 0
		.amdhsa_user_sgpr_queue_ptr 0
		.amdhsa_user_sgpr_kernarg_segment_ptr 1
		.amdhsa_user_sgpr_dispatch_id 0
		.amdhsa_user_sgpr_private_segment_size 0
		.amdhsa_wavefront_size32 1
		.amdhsa_uses_dynamic_stack 0
		.amdhsa_enable_private_segment 0
		.amdhsa_system_sgpr_workgroup_id_x 1
		.amdhsa_system_sgpr_workgroup_id_y 0
		.amdhsa_system_sgpr_workgroup_id_z 0
		.amdhsa_system_sgpr_workgroup_info 0
		.amdhsa_system_vgpr_workitem_id 0
		.amdhsa_next_free_vgpr 15
		.amdhsa_next_free_sgpr 16
		.amdhsa_reserve_vcc 1
		.amdhsa_float_round_mode_32 0
		.amdhsa_float_round_mode_16_64 0
		.amdhsa_float_denorm_mode_32 3
		.amdhsa_float_denorm_mode_16_64 3
		.amdhsa_dx10_clamp 1
		.amdhsa_ieee_mode 1
		.amdhsa_fp16_overflow 0
		.amdhsa_workgroup_processor_mode 1
		.amdhsa_memory_ordered 1
		.amdhsa_forward_progress 0
		.amdhsa_shared_vgpr_count 0
		.amdhsa_exception_fp_ieee_invalid_op 0
		.amdhsa_exception_fp_denorm_src 0
		.amdhsa_exception_fp_ieee_div_zero 0
		.amdhsa_exception_fp_ieee_overflow 0
		.amdhsa_exception_fp_ieee_underflow 0
		.amdhsa_exception_fp_ieee_inexact 0
		.amdhsa_exception_int_div_zero 0
	.end_amdhsa_kernel
	.section	.text._Z6kernelI14exclusive_scannLj15ELj100EEvPKT0_PS1_S1_,"axG",@progbits,_Z6kernelI14exclusive_scannLj15ELj100EEvPKT0_PS1_S1_,comdat
.Lfunc_end113:
	.size	_Z6kernelI14exclusive_scannLj15ELj100EEvPKT0_PS1_S1_, .Lfunc_end113-_Z6kernelI14exclusive_scannLj15ELj100EEvPKT0_PS1_S1_
                                        ; -- End function
	.section	.AMDGPU.csdata,"",@progbits
; Kernel info:
; codeLenInByte = 560
; NumSgprs: 18
; NumVgprs: 15
; ScratchSize: 0
; MemoryBound: 0
; FloatMode: 240
; IeeeMode: 1
; LDSByteSize: 240 bytes/workgroup (compile time only)
; SGPRBlocks: 2
; VGPRBlocks: 1
; NumSGPRsForWavesPerEU: 18
; NumVGPRsForWavesPerEU: 15
; Occupancy: 16
; WaveLimiterHint : 0
; COMPUTE_PGM_RSRC2:SCRATCH_EN: 0
; COMPUTE_PGM_RSRC2:USER_SGPR: 15
; COMPUTE_PGM_RSRC2:TRAP_HANDLER: 0
; COMPUTE_PGM_RSRC2:TGID_X_EN: 1
; COMPUTE_PGM_RSRC2:TGID_Y_EN: 0
; COMPUTE_PGM_RSRC2:TGID_Z_EN: 0
; COMPUTE_PGM_RSRC2:TIDIG_COMP_CNT: 0
	.section	.text._Z6kernelI14exclusive_scanoLj64ELj100EEvPKT0_PS1_S1_,"axG",@progbits,_Z6kernelI14exclusive_scanoLj64ELj100EEvPKT0_PS1_S1_,comdat
	.protected	_Z6kernelI14exclusive_scanoLj64ELj100EEvPKT0_PS1_S1_ ; -- Begin function _Z6kernelI14exclusive_scanoLj64ELj100EEvPKT0_PS1_S1_
	.globl	_Z6kernelI14exclusive_scanoLj64ELj100EEvPKT0_PS1_S1_
	.p2align	8
	.type	_Z6kernelI14exclusive_scanoLj64ELj100EEvPKT0_PS1_S1_,@function
_Z6kernelI14exclusive_scanoLj64ELj100EEvPKT0_PS1_S1_: ; @_Z6kernelI14exclusive_scanoLj64ELj100EEvPKT0_PS1_S1_
; %bb.0:
	s_clause 0x1
	s_load_b32 s4, s[0:1], 0x2c
	s_load_b128 s[0:3], s[0:1], 0x0
	s_waitcnt lgkmcnt(0)
	s_and_b32 s4, s4, 0xffff
	s_delay_alu instid0(SALU_CYCLE_1) | instskip(SKIP_1) | instid1(VALU_DEP_1)
	v_mad_u64_u32 v[1:2], null, s15, s4, v[0:1]
	v_mov_b32_e32 v2, 0
	v_lshlrev_b64 v[4:5], 4, v[1:2]
	s_delay_alu instid0(VALU_DEP_1) | instskip(NEXT) | instid1(VALU_DEP_2)
	v_add_co_u32 v0, vcc_lo, s0, v4
	v_add_co_ci_u32_e32 v1, vcc_lo, s1, v5, vcc_lo
	v_add_co_u32 v4, vcc_lo, s2, v4
	v_add_co_ci_u32_e32 v5, vcc_lo, s3, v5, vcc_lo
	global_load_b128 v[0:3], v[0:1], off
	s_waitcnt vmcnt(0)
	global_store_b128 v[4:5], v[0:3], off
	s_nop 0
	s_sendmsg sendmsg(MSG_DEALLOC_VGPRS)
	s_endpgm
	.section	.rodata,"a",@progbits
	.p2align	6, 0x0
	.amdhsa_kernel _Z6kernelI14exclusive_scanoLj64ELj100EEvPKT0_PS1_S1_
		.amdhsa_group_segment_fixed_size 0
		.amdhsa_private_segment_fixed_size 0
		.amdhsa_kernarg_size 288
		.amdhsa_user_sgpr_count 15
		.amdhsa_user_sgpr_dispatch_ptr 0
		.amdhsa_user_sgpr_queue_ptr 0
		.amdhsa_user_sgpr_kernarg_segment_ptr 1
		.amdhsa_user_sgpr_dispatch_id 0
		.amdhsa_user_sgpr_private_segment_size 0
		.amdhsa_wavefront_size32 1
		.amdhsa_uses_dynamic_stack 0
		.amdhsa_enable_private_segment 0
		.amdhsa_system_sgpr_workgroup_id_x 1
		.amdhsa_system_sgpr_workgroup_id_y 0
		.amdhsa_system_sgpr_workgroup_id_z 0
		.amdhsa_system_sgpr_workgroup_info 0
		.amdhsa_system_vgpr_workitem_id 0
		.amdhsa_next_free_vgpr 6
		.amdhsa_next_free_sgpr 16
		.amdhsa_reserve_vcc 1
		.amdhsa_float_round_mode_32 0
		.amdhsa_float_round_mode_16_64 0
		.amdhsa_float_denorm_mode_32 3
		.amdhsa_float_denorm_mode_16_64 3
		.amdhsa_dx10_clamp 1
		.amdhsa_ieee_mode 1
		.amdhsa_fp16_overflow 0
		.amdhsa_workgroup_processor_mode 1
		.amdhsa_memory_ordered 1
		.amdhsa_forward_progress 0
		.amdhsa_shared_vgpr_count 0
		.amdhsa_exception_fp_ieee_invalid_op 0
		.amdhsa_exception_fp_denorm_src 0
		.amdhsa_exception_fp_ieee_div_zero 0
		.amdhsa_exception_fp_ieee_overflow 0
		.amdhsa_exception_fp_ieee_underflow 0
		.amdhsa_exception_fp_ieee_inexact 0
		.amdhsa_exception_int_div_zero 0
	.end_amdhsa_kernel
	.section	.text._Z6kernelI14exclusive_scanoLj64ELj100EEvPKT0_PS1_S1_,"axG",@progbits,_Z6kernelI14exclusive_scanoLj64ELj100EEvPKT0_PS1_S1_,comdat
.Lfunc_end114:
	.size	_Z6kernelI14exclusive_scanoLj64ELj100EEvPKT0_PS1_S1_, .Lfunc_end114-_Z6kernelI14exclusive_scanoLj64ELj100EEvPKT0_PS1_S1_
                                        ; -- End function
	.section	.AMDGPU.csdata,"",@progbits
; Kernel info:
; codeLenInByte = 116
; NumSgprs: 18
; NumVgprs: 6
; ScratchSize: 0
; MemoryBound: 0
; FloatMode: 240
; IeeeMode: 1
; LDSByteSize: 0 bytes/workgroup (compile time only)
; SGPRBlocks: 2
; VGPRBlocks: 0
; NumSGPRsForWavesPerEU: 18
; NumVGPRsForWavesPerEU: 6
; Occupancy: 16
; WaveLimiterHint : 0
; COMPUTE_PGM_RSRC2:SCRATCH_EN: 0
; COMPUTE_PGM_RSRC2:USER_SGPR: 15
; COMPUTE_PGM_RSRC2:TRAP_HANDLER: 0
; COMPUTE_PGM_RSRC2:TGID_X_EN: 1
; COMPUTE_PGM_RSRC2:TGID_Y_EN: 0
; COMPUTE_PGM_RSRC2:TGID_Z_EN: 0
; COMPUTE_PGM_RSRC2:TIDIG_COMP_CNT: 0
	.section	.text._Z6kernelI14exclusive_scanoLj32ELj100EEvPKT0_PS1_S1_,"axG",@progbits,_Z6kernelI14exclusive_scanoLj32ELj100EEvPKT0_PS1_S1_,comdat
	.protected	_Z6kernelI14exclusive_scanoLj32ELj100EEvPKT0_PS1_S1_ ; -- Begin function _Z6kernelI14exclusive_scanoLj32ELj100EEvPKT0_PS1_S1_
	.globl	_Z6kernelI14exclusive_scanoLj32ELj100EEvPKT0_PS1_S1_
	.p2align	8
	.type	_Z6kernelI14exclusive_scanoLj32ELj100EEvPKT0_PS1_S1_,@function
_Z6kernelI14exclusive_scanoLj32ELj100EEvPKT0_PS1_S1_: ; @_Z6kernelI14exclusive_scanoLj32ELj100EEvPKT0_PS1_S1_
; %bb.0:
	s_clause 0x1
	s_load_b32 s2, s[0:1], 0x2c
	s_load_b256 s[4:11], s[0:1], 0x0
	v_mbcnt_lo_u32_b32 v7, -1, 0
	s_movk_i32 s12, 0x64
	s_delay_alu instid0(VALU_DEP_1) | instskip(SKIP_2) | instid1(VALU_DEP_2)
	v_add_nc_u32_e32 v8, -1, v7
	v_and_b32_e32 v6, 15, v7
	v_and_b32_e32 v9, 16, v7
	v_cmp_lt_u32_e64 s1, 1, v6
	v_cmp_lt_u32_e64 s3, 7, v6
	s_waitcnt lgkmcnt(0)
	s_and_b32 s0, s2, 0xffff
	v_cmp_lt_u32_e64 s2, 3, v6
	v_mad_u64_u32 v[1:2], null, s15, s0, v[0:1]
	v_mov_b32_e32 v2, 0
	v_cmp_ne_u32_e64 s0, 0, v6
	s_delay_alu instid0(VALU_DEP_2) | instskip(NEXT) | instid1(VALU_DEP_1)
	v_lshlrev_b64 v[4:5], 4, v[1:2]
	v_add_co_u32 v0, vcc_lo, s4, v4
	s_delay_alu instid0(VALU_DEP_2)
	v_add_co_ci_u32_e32 v1, vcc_lo, s5, v5, vcc_lo
	v_cmp_gt_i32_e32 vcc_lo, 0, v8
	v_cmp_ne_u32_e64 s4, 0, v9
	v_cmp_eq_u32_e64 s5, 0, v7
	global_load_b128 v[0:3], v[0:1], off
	v_cndmask_b32_e32 v8, v8, v7, vcc_lo
	s_delay_alu instid0(VALU_DEP_1)
	v_lshlrev_b32_e32 v6, 2, v8
	s_branch .LBB115_2
.LBB115_1:                              ;   in Loop: Header=BB115_2 Depth=1
	s_or_b32 exec_lo, exec_lo, s13
	v_add_co_u32 v0, vcc_lo, v0, s8
	v_add_co_ci_u32_e32 v1, vcc_lo, s9, v1, vcc_lo
	v_add_co_ci_u32_e32 v2, vcc_lo, s10, v2, vcc_lo
	;; [unrolled: 1-line block ×3, first 2 shown]
	ds_bpermute_b32 v0, v6, v0
	ds_bpermute_b32 v1, v6, v1
	;; [unrolled: 1-line block ×4, first 2 shown]
	s_add_i32 s12, s12, -1
	s_delay_alu instid0(SALU_CYCLE_1)
	s_cmp_lg_u32 s12, 0
	s_waitcnt lgkmcnt(3)
	v_cndmask_b32_e64 v0, v0, s8, s5
	s_waitcnt lgkmcnt(2)
	v_cndmask_b32_e64 v1, v1, s9, s5
	s_waitcnt lgkmcnt(1)
	v_cndmask_b32_e64 v2, v2, s10, s5
	s_waitcnt lgkmcnt(0)
	v_cndmask_b32_e64 v3, v3, s11, s5
	s_cbranch_scc0 .LBB115_12
.LBB115_2:                              ; =>This Inner Loop Header: Depth=1
	s_waitcnt vmcnt(0)
	v_mov_b32_dpp v12, v0 row_shr:1 row_mask:0xf bank_mask:0xf
	v_mov_b32_dpp v11, v1 row_shr:1 row_mask:0xf bank_mask:0xf
	;; [unrolled: 1-line block ×4, first 2 shown]
	v_dual_mov_b32 v8, v2 :: v_dual_mov_b32 v7, v0
	s_and_saveexec_b32 s13, s0
	s_cbranch_execz .LBB115_4
; %bb.3:                                ;   in Loop: Header=BB115_2 Depth=1
	v_add_co_u32 v7, vcc_lo, v0, v12
	v_add_co_ci_u32_e32 v1, vcc_lo, 0, v1, vcc_lo
	v_add_co_ci_u32_e32 v2, vcc_lo, 0, v2, vcc_lo
	;; [unrolled: 1-line block ×3, first 2 shown]
	s_delay_alu instid0(VALU_DEP_4) | instskip(NEXT) | instid1(VALU_DEP_4)
	v_add_co_u32 v0, vcc_lo, 0, v7
	v_add_co_ci_u32_e32 v1, vcc_lo, v11, v1, vcc_lo
	s_delay_alu instid0(VALU_DEP_4) | instskip(NEXT) | instid1(VALU_DEP_4)
	v_add_co_ci_u32_e32 v2, vcc_lo, 0, v2, vcc_lo
	v_add_co_ci_u32_e32 v3, vcc_lo, 0, v3, vcc_lo
	s_delay_alu instid0(VALU_DEP_2) | instskip(NEXT) | instid1(VALU_DEP_2)
	v_add_co_u32 v8, vcc_lo, v2, v10
	v_add_co_ci_u32_e32 v3, vcc_lo, 0, v3, vcc_lo
	s_delay_alu instid0(VALU_DEP_2) | instskip(NEXT) | instid1(VALU_DEP_2)
	v_add_co_u32 v2, vcc_lo, v8, 0
	v_add_co_ci_u32_e32 v3, vcc_lo, v3, v9, vcc_lo
.LBB115_4:                              ;   in Loop: Header=BB115_2 Depth=1
	s_or_b32 exec_lo, exec_lo, s13
	s_delay_alu instid0(VALU_DEP_1)
	v_mov_b32_dpp v12, v7 row_shr:2 row_mask:0xf bank_mask:0xf
	v_mov_b32_dpp v11, v1 row_shr:2 row_mask:0xf bank_mask:0xf
	;; [unrolled: 1-line block ×4, first 2 shown]
	s_and_saveexec_b32 s13, s1
	s_cbranch_execz .LBB115_6
; %bb.5:                                ;   in Loop: Header=BB115_2 Depth=1
	v_add_co_u32 v7, vcc_lo, v0, v12
	v_add_co_ci_u32_e32 v1, vcc_lo, 0, v1, vcc_lo
	v_add_co_ci_u32_e32 v2, vcc_lo, 0, v2, vcc_lo
	;; [unrolled: 1-line block ×3, first 2 shown]
	s_delay_alu instid0(VALU_DEP_4) | instskip(NEXT) | instid1(VALU_DEP_4)
	v_add_co_u32 v0, vcc_lo, 0, v7
	v_add_co_ci_u32_e32 v1, vcc_lo, v11, v1, vcc_lo
	s_delay_alu instid0(VALU_DEP_4) | instskip(NEXT) | instid1(VALU_DEP_4)
	v_add_co_ci_u32_e32 v2, vcc_lo, 0, v2, vcc_lo
	v_add_co_ci_u32_e32 v3, vcc_lo, 0, v3, vcc_lo
	s_delay_alu instid0(VALU_DEP_2) | instskip(NEXT) | instid1(VALU_DEP_2)
	v_add_co_u32 v8, vcc_lo, v2, v10
	v_add_co_ci_u32_e32 v3, vcc_lo, 0, v3, vcc_lo
	s_delay_alu instid0(VALU_DEP_2) | instskip(NEXT) | instid1(VALU_DEP_2)
	v_add_co_u32 v2, vcc_lo, v8, 0
	v_add_co_ci_u32_e32 v3, vcc_lo, v3, v9, vcc_lo
.LBB115_6:                              ;   in Loop: Header=BB115_2 Depth=1
	s_or_b32 exec_lo, exec_lo, s13
	v_mov_b32_dpp v12, v7 row_shr:4 row_mask:0xf bank_mask:0xf
	v_mov_b32_dpp v11, v1 row_shr:4 row_mask:0xf bank_mask:0xf
	;; [unrolled: 1-line block ×4, first 2 shown]
	s_and_saveexec_b32 s13, s2
	s_cbranch_execz .LBB115_8
; %bb.7:                                ;   in Loop: Header=BB115_2 Depth=1
	v_add_co_u32 v7, vcc_lo, v0, v12
	v_add_co_ci_u32_e32 v1, vcc_lo, 0, v1, vcc_lo
	v_add_co_ci_u32_e32 v2, vcc_lo, 0, v2, vcc_lo
	;; [unrolled: 1-line block ×3, first 2 shown]
	s_delay_alu instid0(VALU_DEP_4) | instskip(NEXT) | instid1(VALU_DEP_4)
	v_add_co_u32 v0, vcc_lo, 0, v7
	v_add_co_ci_u32_e32 v1, vcc_lo, v11, v1, vcc_lo
	s_delay_alu instid0(VALU_DEP_4) | instskip(NEXT) | instid1(VALU_DEP_4)
	v_add_co_ci_u32_e32 v2, vcc_lo, 0, v2, vcc_lo
	v_add_co_ci_u32_e32 v3, vcc_lo, 0, v3, vcc_lo
	s_delay_alu instid0(VALU_DEP_2) | instskip(NEXT) | instid1(VALU_DEP_2)
	v_add_co_u32 v8, vcc_lo, v2, v10
	v_add_co_ci_u32_e32 v3, vcc_lo, 0, v3, vcc_lo
	s_delay_alu instid0(VALU_DEP_2) | instskip(NEXT) | instid1(VALU_DEP_2)
	v_add_co_u32 v2, vcc_lo, v8, 0
	v_add_co_ci_u32_e32 v3, vcc_lo, v3, v9, vcc_lo
.LBB115_8:                              ;   in Loop: Header=BB115_2 Depth=1
	s_or_b32 exec_lo, exec_lo, s13
	v_mov_b32_dpp v12, v7 row_shr:8 row_mask:0xf bank_mask:0xf
	v_mov_b32_dpp v11, v1 row_shr:8 row_mask:0xf bank_mask:0xf
	;; [unrolled: 1-line block ×4, first 2 shown]
	s_and_saveexec_b32 s13, s3
	s_cbranch_execz .LBB115_10
; %bb.9:                                ;   in Loop: Header=BB115_2 Depth=1
	v_add_co_u32 v7, vcc_lo, v0, v12
	v_add_co_ci_u32_e32 v1, vcc_lo, 0, v1, vcc_lo
	v_add_co_ci_u32_e32 v2, vcc_lo, 0, v2, vcc_lo
	;; [unrolled: 1-line block ×3, first 2 shown]
	s_delay_alu instid0(VALU_DEP_4) | instskip(NEXT) | instid1(VALU_DEP_4)
	v_add_co_u32 v0, vcc_lo, 0, v7
	v_add_co_ci_u32_e32 v1, vcc_lo, v11, v1, vcc_lo
	s_delay_alu instid0(VALU_DEP_4) | instskip(NEXT) | instid1(VALU_DEP_4)
	v_add_co_ci_u32_e32 v2, vcc_lo, 0, v2, vcc_lo
	v_add_co_ci_u32_e32 v3, vcc_lo, 0, v3, vcc_lo
	s_delay_alu instid0(VALU_DEP_2) | instskip(NEXT) | instid1(VALU_DEP_2)
	v_add_co_u32 v8, vcc_lo, v2, v10
	v_add_co_ci_u32_e32 v3, vcc_lo, 0, v3, vcc_lo
	s_delay_alu instid0(VALU_DEP_2) | instskip(NEXT) | instid1(VALU_DEP_2)
	v_add_co_u32 v2, vcc_lo, v8, 0
	v_add_co_ci_u32_e32 v3, vcc_lo, v3, v9, vcc_lo
.LBB115_10:                             ;   in Loop: Header=BB115_2 Depth=1
	s_or_b32 exec_lo, exec_lo, s13
	ds_swizzle_b32 v10, v7 offset:swizzle(BROADCAST,32,15)
	ds_swizzle_b32 v9, v1 offset:swizzle(BROADCAST,32,15)
	;; [unrolled: 1-line block ×4, first 2 shown]
	s_and_saveexec_b32 s13, s4
	s_cbranch_execz .LBB115_1
; %bb.11:                               ;   in Loop: Header=BB115_2 Depth=1
	s_waitcnt lgkmcnt(3)
	v_add_co_u32 v0, vcc_lo, v0, v10
	v_add_co_ci_u32_e32 v1, vcc_lo, 0, v1, vcc_lo
	v_add_co_ci_u32_e32 v2, vcc_lo, 0, v2, vcc_lo
	;; [unrolled: 1-line block ×3, first 2 shown]
	s_delay_alu instid0(VALU_DEP_4)
	v_add_co_u32 v0, vcc_lo, v0, 0
	s_waitcnt lgkmcnt(2)
	v_add_co_ci_u32_e32 v1, vcc_lo, v1, v9, vcc_lo
	v_add_co_ci_u32_e32 v2, vcc_lo, 0, v2, vcc_lo
	;; [unrolled: 1-line block ×3, first 2 shown]
	s_waitcnt lgkmcnt(1)
	s_delay_alu instid0(VALU_DEP_2) | instskip(NEXT) | instid1(VALU_DEP_2)
	v_add_co_u32 v2, vcc_lo, v2, v8
	v_add_co_ci_u32_e32 v3, vcc_lo, 0, v3, vcc_lo
	s_delay_alu instid0(VALU_DEP_2) | instskip(SKIP_1) | instid1(VALU_DEP_2)
	v_add_co_u32 v2, vcc_lo, v2, 0
	s_waitcnt lgkmcnt(0)
	v_add_co_ci_u32_e32 v3, vcc_lo, v3, v7, vcc_lo
	s_branch .LBB115_1
.LBB115_12:
	v_add_co_u32 v4, vcc_lo, s6, v4
	v_add_co_ci_u32_e32 v5, vcc_lo, s7, v5, vcc_lo
	global_store_b128 v[4:5], v[0:3], off
	s_nop 0
	s_sendmsg sendmsg(MSG_DEALLOC_VGPRS)
	s_endpgm
	.section	.rodata,"a",@progbits
	.p2align	6, 0x0
	.amdhsa_kernel _Z6kernelI14exclusive_scanoLj32ELj100EEvPKT0_PS1_S1_
		.amdhsa_group_segment_fixed_size 0
		.amdhsa_private_segment_fixed_size 0
		.amdhsa_kernarg_size 288
		.amdhsa_user_sgpr_count 15
		.amdhsa_user_sgpr_dispatch_ptr 0
		.amdhsa_user_sgpr_queue_ptr 0
		.amdhsa_user_sgpr_kernarg_segment_ptr 1
		.amdhsa_user_sgpr_dispatch_id 0
		.amdhsa_user_sgpr_private_segment_size 0
		.amdhsa_wavefront_size32 1
		.amdhsa_uses_dynamic_stack 0
		.amdhsa_enable_private_segment 0
		.amdhsa_system_sgpr_workgroup_id_x 1
		.amdhsa_system_sgpr_workgroup_id_y 0
		.amdhsa_system_sgpr_workgroup_id_z 0
		.amdhsa_system_sgpr_workgroup_info 0
		.amdhsa_system_vgpr_workitem_id 0
		.amdhsa_next_free_vgpr 13
		.amdhsa_next_free_sgpr 16
		.amdhsa_reserve_vcc 1
		.amdhsa_float_round_mode_32 0
		.amdhsa_float_round_mode_16_64 0
		.amdhsa_float_denorm_mode_32 3
		.amdhsa_float_denorm_mode_16_64 3
		.amdhsa_dx10_clamp 1
		.amdhsa_ieee_mode 1
		.amdhsa_fp16_overflow 0
		.amdhsa_workgroup_processor_mode 1
		.amdhsa_memory_ordered 1
		.amdhsa_forward_progress 0
		.amdhsa_shared_vgpr_count 0
		.amdhsa_exception_fp_ieee_invalid_op 0
		.amdhsa_exception_fp_denorm_src 0
		.amdhsa_exception_fp_ieee_div_zero 0
		.amdhsa_exception_fp_ieee_overflow 0
		.amdhsa_exception_fp_ieee_underflow 0
		.amdhsa_exception_fp_ieee_inexact 0
		.amdhsa_exception_int_div_zero 0
	.end_amdhsa_kernel
	.section	.text._Z6kernelI14exclusive_scanoLj32ELj100EEvPKT0_PS1_S1_,"axG",@progbits,_Z6kernelI14exclusive_scanoLj32ELj100EEvPKT0_PS1_S1_,comdat
.Lfunc_end115:
	.size	_Z6kernelI14exclusive_scanoLj32ELj100EEvPKT0_PS1_S1_, .Lfunc_end115-_Z6kernelI14exclusive_scanoLj32ELj100EEvPKT0_PS1_S1_
                                        ; -- End function
	.section	.AMDGPU.csdata,"",@progbits
; Kernel info:
; codeLenInByte = 976
; NumSgprs: 18
; NumVgprs: 13
; ScratchSize: 0
; MemoryBound: 0
; FloatMode: 240
; IeeeMode: 1
; LDSByteSize: 0 bytes/workgroup (compile time only)
; SGPRBlocks: 2
; VGPRBlocks: 1
; NumSGPRsForWavesPerEU: 18
; NumVGPRsForWavesPerEU: 13
; Occupancy: 16
; WaveLimiterHint : 0
; COMPUTE_PGM_RSRC2:SCRATCH_EN: 0
; COMPUTE_PGM_RSRC2:USER_SGPR: 15
; COMPUTE_PGM_RSRC2:TRAP_HANDLER: 0
; COMPUTE_PGM_RSRC2:TGID_X_EN: 1
; COMPUTE_PGM_RSRC2:TGID_Y_EN: 0
; COMPUTE_PGM_RSRC2:TGID_Z_EN: 0
; COMPUTE_PGM_RSRC2:TIDIG_COMP_CNT: 0
	.section	.text._Z6kernelI14exclusive_scanoLj16ELj100EEvPKT0_PS1_S1_,"axG",@progbits,_Z6kernelI14exclusive_scanoLj16ELj100EEvPKT0_PS1_S1_,comdat
	.protected	_Z6kernelI14exclusive_scanoLj16ELj100EEvPKT0_PS1_S1_ ; -- Begin function _Z6kernelI14exclusive_scanoLj16ELj100EEvPKT0_PS1_S1_
	.globl	_Z6kernelI14exclusive_scanoLj16ELj100EEvPKT0_PS1_S1_
	.p2align	8
	.type	_Z6kernelI14exclusive_scanoLj16ELj100EEvPKT0_PS1_S1_,@function
_Z6kernelI14exclusive_scanoLj16ELj100EEvPKT0_PS1_S1_: ; @_Z6kernelI14exclusive_scanoLj16ELj100EEvPKT0_PS1_S1_
; %bb.0:
	s_clause 0x1
	s_load_b32 s2, s[0:1], 0x2c
	s_load_b256 s[4:11], s[0:1], 0x0
	v_mbcnt_lo_u32_b32 v6, -1, 0
	s_delay_alu instid0(VALU_DEP_1) | instskip(SKIP_2) | instid1(VALU_DEP_1)
	v_add_nc_u32_e32 v8, -1, v6
	v_and_b32_e32 v9, 16, v6
	v_and_b32_e32 v7, 15, v6
	v_cmp_ne_u32_e64 s1, 0, v7
	v_cmp_lt_u32_e64 s3, 3, v7
	s_waitcnt lgkmcnt(0)
	s_and_b32 s0, s2, 0xffff
	v_cmp_lt_u32_e64 s2, 1, v7
	v_mad_u64_u32 v[1:2], null, s15, s0, v[0:1]
	v_mov_b32_e32 v2, 0
	v_cmp_eq_u32_e64 s0, 0, v7
	s_delay_alu instid0(VALU_DEP_2) | instskip(NEXT) | instid1(VALU_DEP_1)
	v_lshlrev_b64 v[4:5], 4, v[1:2]
	v_add_co_u32 v0, vcc_lo, s4, v4
	s_delay_alu instid0(VALU_DEP_2)
	v_add_co_ci_u32_e32 v1, vcc_lo, s5, v5, vcc_lo
	v_cmp_lt_i32_e32 vcc_lo, v8, v9
	v_cmp_lt_u32_e64 s4, 7, v7
	s_movk_i32 s5, 0x64
	global_load_b128 v[0:3], v[0:1], off
	v_cndmask_b32_e32 v6, v8, v6, vcc_lo
	s_delay_alu instid0(VALU_DEP_1)
	v_lshlrev_b32_e32 v6, 2, v6
	s_branch .LBB116_2
.LBB116_1:                              ;   in Loop: Header=BB116_2 Depth=1
	s_or_b32 exec_lo, exec_lo, s12
	v_add_co_u32 v0, vcc_lo, v0, s8
	v_add_co_ci_u32_e32 v1, vcc_lo, s9, v1, vcc_lo
	v_add_co_ci_u32_e32 v2, vcc_lo, s10, v2, vcc_lo
	;; [unrolled: 1-line block ×3, first 2 shown]
	ds_bpermute_b32 v0, v6, v0
	ds_bpermute_b32 v1, v6, v1
	;; [unrolled: 1-line block ×4, first 2 shown]
	s_add_i32 s5, s5, -1
	s_delay_alu instid0(SALU_CYCLE_1)
	s_cmp_lg_u32 s5, 0
	s_waitcnt lgkmcnt(3)
	v_cndmask_b32_e64 v0, v0, s8, s0
	s_waitcnt lgkmcnt(2)
	v_cndmask_b32_e64 v1, v1, s9, s0
	;; [unrolled: 2-line block ×4, first 2 shown]
	s_cbranch_scc0 .LBB116_10
.LBB116_2:                              ; =>This Inner Loop Header: Depth=1
	s_waitcnt vmcnt(0)
	v_mov_b32_dpp v12, v0 row_shr:1 row_mask:0xf bank_mask:0xf
	v_mov_b32_dpp v11, v1 row_shr:1 row_mask:0xf bank_mask:0xf
	;; [unrolled: 1-line block ×4, first 2 shown]
	v_dual_mov_b32 v8, v2 :: v_dual_mov_b32 v7, v0
	s_and_saveexec_b32 s12, s1
	s_cbranch_execz .LBB116_4
; %bb.3:                                ;   in Loop: Header=BB116_2 Depth=1
	v_add_co_u32 v7, vcc_lo, v0, v12
	v_add_co_ci_u32_e32 v1, vcc_lo, 0, v1, vcc_lo
	v_add_co_ci_u32_e32 v2, vcc_lo, 0, v2, vcc_lo
	;; [unrolled: 1-line block ×3, first 2 shown]
	s_delay_alu instid0(VALU_DEP_4) | instskip(NEXT) | instid1(VALU_DEP_4)
	v_add_co_u32 v0, vcc_lo, 0, v7
	v_add_co_ci_u32_e32 v1, vcc_lo, v11, v1, vcc_lo
	s_delay_alu instid0(VALU_DEP_4) | instskip(NEXT) | instid1(VALU_DEP_4)
	v_add_co_ci_u32_e32 v2, vcc_lo, 0, v2, vcc_lo
	v_add_co_ci_u32_e32 v3, vcc_lo, 0, v3, vcc_lo
	s_delay_alu instid0(VALU_DEP_2) | instskip(NEXT) | instid1(VALU_DEP_2)
	v_add_co_u32 v8, vcc_lo, v2, v10
	v_add_co_ci_u32_e32 v3, vcc_lo, 0, v3, vcc_lo
	s_delay_alu instid0(VALU_DEP_2) | instskip(NEXT) | instid1(VALU_DEP_2)
	v_add_co_u32 v2, vcc_lo, v8, 0
	v_add_co_ci_u32_e32 v3, vcc_lo, v3, v9, vcc_lo
.LBB116_4:                              ;   in Loop: Header=BB116_2 Depth=1
	s_or_b32 exec_lo, exec_lo, s12
	s_delay_alu instid0(VALU_DEP_1)
	v_mov_b32_dpp v12, v7 row_shr:2 row_mask:0xf bank_mask:0xf
	v_mov_b32_dpp v11, v1 row_shr:2 row_mask:0xf bank_mask:0xf
	;; [unrolled: 1-line block ×4, first 2 shown]
	s_and_saveexec_b32 s12, s2
	s_cbranch_execz .LBB116_6
; %bb.5:                                ;   in Loop: Header=BB116_2 Depth=1
	v_add_co_u32 v7, vcc_lo, v0, v12
	v_add_co_ci_u32_e32 v1, vcc_lo, 0, v1, vcc_lo
	v_add_co_ci_u32_e32 v2, vcc_lo, 0, v2, vcc_lo
	;; [unrolled: 1-line block ×3, first 2 shown]
	s_delay_alu instid0(VALU_DEP_4) | instskip(NEXT) | instid1(VALU_DEP_4)
	v_add_co_u32 v0, vcc_lo, 0, v7
	v_add_co_ci_u32_e32 v1, vcc_lo, v11, v1, vcc_lo
	s_delay_alu instid0(VALU_DEP_4) | instskip(NEXT) | instid1(VALU_DEP_4)
	v_add_co_ci_u32_e32 v2, vcc_lo, 0, v2, vcc_lo
	v_add_co_ci_u32_e32 v3, vcc_lo, 0, v3, vcc_lo
	s_delay_alu instid0(VALU_DEP_2) | instskip(NEXT) | instid1(VALU_DEP_2)
	v_add_co_u32 v8, vcc_lo, v2, v10
	v_add_co_ci_u32_e32 v3, vcc_lo, 0, v3, vcc_lo
	s_delay_alu instid0(VALU_DEP_2) | instskip(NEXT) | instid1(VALU_DEP_2)
	v_add_co_u32 v2, vcc_lo, v8, 0
	v_add_co_ci_u32_e32 v3, vcc_lo, v3, v9, vcc_lo
.LBB116_6:                              ;   in Loop: Header=BB116_2 Depth=1
	s_or_b32 exec_lo, exec_lo, s12
	v_mov_b32_dpp v12, v7 row_shr:4 row_mask:0xf bank_mask:0xf
	v_mov_b32_dpp v11, v1 row_shr:4 row_mask:0xf bank_mask:0xf
	v_mov_b32_dpp v10, v8 row_shr:4 row_mask:0xf bank_mask:0xf
	v_mov_b32_dpp v9, v3 row_shr:4 row_mask:0xf bank_mask:0xf
	s_and_saveexec_b32 s12, s3
	s_cbranch_execz .LBB116_8
; %bb.7:                                ;   in Loop: Header=BB116_2 Depth=1
	v_add_co_u32 v7, vcc_lo, v0, v12
	v_add_co_ci_u32_e32 v1, vcc_lo, 0, v1, vcc_lo
	v_add_co_ci_u32_e32 v2, vcc_lo, 0, v2, vcc_lo
	;; [unrolled: 1-line block ×3, first 2 shown]
	s_delay_alu instid0(VALU_DEP_4) | instskip(NEXT) | instid1(VALU_DEP_4)
	v_add_co_u32 v0, vcc_lo, 0, v7
	v_add_co_ci_u32_e32 v1, vcc_lo, v11, v1, vcc_lo
	s_delay_alu instid0(VALU_DEP_4) | instskip(NEXT) | instid1(VALU_DEP_4)
	v_add_co_ci_u32_e32 v2, vcc_lo, 0, v2, vcc_lo
	v_add_co_ci_u32_e32 v3, vcc_lo, 0, v3, vcc_lo
	s_delay_alu instid0(VALU_DEP_2) | instskip(NEXT) | instid1(VALU_DEP_2)
	v_add_co_u32 v8, vcc_lo, v2, v10
	v_add_co_ci_u32_e32 v3, vcc_lo, 0, v3, vcc_lo
	s_delay_alu instid0(VALU_DEP_2) | instskip(NEXT) | instid1(VALU_DEP_2)
	v_add_co_u32 v2, vcc_lo, v8, 0
	v_add_co_ci_u32_e32 v3, vcc_lo, v3, v9, vcc_lo
.LBB116_8:                              ;   in Loop: Header=BB116_2 Depth=1
	s_or_b32 exec_lo, exec_lo, s12
	v_mov_b32_dpp v10, v7 row_shr:8 row_mask:0xf bank_mask:0xf
	v_mov_b32_dpp v9, v1 row_shr:8 row_mask:0xf bank_mask:0xf
	;; [unrolled: 1-line block ×4, first 2 shown]
	s_and_saveexec_b32 s12, s4
	s_cbranch_execz .LBB116_1
; %bb.9:                                ;   in Loop: Header=BB116_2 Depth=1
	v_add_co_u32 v0, vcc_lo, v0, v10
	v_add_co_ci_u32_e32 v1, vcc_lo, 0, v1, vcc_lo
	v_add_co_ci_u32_e32 v2, vcc_lo, 0, v2, vcc_lo
	v_add_co_ci_u32_e32 v3, vcc_lo, 0, v3, vcc_lo
	s_delay_alu instid0(VALU_DEP_4) | instskip(NEXT) | instid1(VALU_DEP_4)
	v_add_co_u32 v0, vcc_lo, v0, 0
	v_add_co_ci_u32_e32 v1, vcc_lo, v1, v9, vcc_lo
	s_delay_alu instid0(VALU_DEP_4) | instskip(NEXT) | instid1(VALU_DEP_4)
	v_add_co_ci_u32_e32 v2, vcc_lo, 0, v2, vcc_lo
	v_add_co_ci_u32_e32 v3, vcc_lo, 0, v3, vcc_lo
	s_delay_alu instid0(VALU_DEP_2) | instskip(NEXT) | instid1(VALU_DEP_2)
	v_add_co_u32 v2, vcc_lo, v2, v8
	v_add_co_ci_u32_e32 v3, vcc_lo, 0, v3, vcc_lo
	s_delay_alu instid0(VALU_DEP_2) | instskip(NEXT) | instid1(VALU_DEP_2)
	v_add_co_u32 v2, vcc_lo, v2, 0
	v_add_co_ci_u32_e32 v3, vcc_lo, v3, v7, vcc_lo
	s_branch .LBB116_1
.LBB116_10:
	v_add_co_u32 v4, vcc_lo, s6, v4
	v_add_co_ci_u32_e32 v5, vcc_lo, s7, v5, vcc_lo
	global_store_b128 v[4:5], v[0:3], off
	s_nop 0
	s_sendmsg sendmsg(MSG_DEALLOC_VGPRS)
	s_endpgm
	.section	.rodata,"a",@progbits
	.p2align	6, 0x0
	.amdhsa_kernel _Z6kernelI14exclusive_scanoLj16ELj100EEvPKT0_PS1_S1_
		.amdhsa_group_segment_fixed_size 0
		.amdhsa_private_segment_fixed_size 0
		.amdhsa_kernarg_size 288
		.amdhsa_user_sgpr_count 15
		.amdhsa_user_sgpr_dispatch_ptr 0
		.amdhsa_user_sgpr_queue_ptr 0
		.amdhsa_user_sgpr_kernarg_segment_ptr 1
		.amdhsa_user_sgpr_dispatch_id 0
		.amdhsa_user_sgpr_private_segment_size 0
		.amdhsa_wavefront_size32 1
		.amdhsa_uses_dynamic_stack 0
		.amdhsa_enable_private_segment 0
		.amdhsa_system_sgpr_workgroup_id_x 1
		.amdhsa_system_sgpr_workgroup_id_y 0
		.amdhsa_system_sgpr_workgroup_id_z 0
		.amdhsa_system_sgpr_workgroup_info 0
		.amdhsa_system_vgpr_workitem_id 0
		.amdhsa_next_free_vgpr 13
		.amdhsa_next_free_sgpr 16
		.amdhsa_reserve_vcc 1
		.amdhsa_float_round_mode_32 0
		.amdhsa_float_round_mode_16_64 0
		.amdhsa_float_denorm_mode_32 3
		.amdhsa_float_denorm_mode_16_64 3
		.amdhsa_dx10_clamp 1
		.amdhsa_ieee_mode 1
		.amdhsa_fp16_overflow 0
		.amdhsa_workgroup_processor_mode 1
		.amdhsa_memory_ordered 1
		.amdhsa_forward_progress 0
		.amdhsa_shared_vgpr_count 0
		.amdhsa_exception_fp_ieee_invalid_op 0
		.amdhsa_exception_fp_denorm_src 0
		.amdhsa_exception_fp_ieee_div_zero 0
		.amdhsa_exception_fp_ieee_overflow 0
		.amdhsa_exception_fp_ieee_underflow 0
		.amdhsa_exception_fp_ieee_inexact 0
		.amdhsa_exception_int_div_zero 0
	.end_amdhsa_kernel
	.section	.text._Z6kernelI14exclusive_scanoLj16ELj100EEvPKT0_PS1_S1_,"axG",@progbits,_Z6kernelI14exclusive_scanoLj16ELj100EEvPKT0_PS1_S1_,comdat
.Lfunc_end116:
	.size	_Z6kernelI14exclusive_scanoLj16ELj100EEvPKT0_PS1_S1_, .Lfunc_end116-_Z6kernelI14exclusive_scanoLj16ELj100EEvPKT0_PS1_S1_
                                        ; -- End function
	.section	.AMDGPU.csdata,"",@progbits
; Kernel info:
; codeLenInByte = 832
; NumSgprs: 18
; NumVgprs: 13
; ScratchSize: 0
; MemoryBound: 0
; FloatMode: 240
; IeeeMode: 1
; LDSByteSize: 0 bytes/workgroup (compile time only)
; SGPRBlocks: 2
; VGPRBlocks: 1
; NumSGPRsForWavesPerEU: 18
; NumVGPRsForWavesPerEU: 13
; Occupancy: 16
; WaveLimiterHint : 0
; COMPUTE_PGM_RSRC2:SCRATCH_EN: 0
; COMPUTE_PGM_RSRC2:USER_SGPR: 15
; COMPUTE_PGM_RSRC2:TRAP_HANDLER: 0
; COMPUTE_PGM_RSRC2:TGID_X_EN: 1
; COMPUTE_PGM_RSRC2:TGID_Y_EN: 0
; COMPUTE_PGM_RSRC2:TGID_Z_EN: 0
; COMPUTE_PGM_RSRC2:TIDIG_COMP_CNT: 0
	.section	.text._Z6kernelI14exclusive_scanoLj63ELj100EEvPKT0_PS1_S1_,"axG",@progbits,_Z6kernelI14exclusive_scanoLj63ELj100EEvPKT0_PS1_S1_,comdat
	.protected	_Z6kernelI14exclusive_scanoLj63ELj100EEvPKT0_PS1_S1_ ; -- Begin function _Z6kernelI14exclusive_scanoLj63ELj100EEvPKT0_PS1_S1_
	.globl	_Z6kernelI14exclusive_scanoLj63ELj100EEvPKT0_PS1_S1_
	.p2align	8
	.type	_Z6kernelI14exclusive_scanoLj63ELj100EEvPKT0_PS1_S1_,@function
_Z6kernelI14exclusive_scanoLj63ELj100EEvPKT0_PS1_S1_: ; @_Z6kernelI14exclusive_scanoLj63ELj100EEvPKT0_PS1_S1_
; %bb.0:
	s_clause 0x1
	s_load_b32 s4, s[0:1], 0x2c
	s_load_b128 s[0:3], s[0:1], 0x0
	s_waitcnt lgkmcnt(0)
	s_and_b32 s4, s4, 0xffff
	s_delay_alu instid0(SALU_CYCLE_1) | instskip(SKIP_1) | instid1(VALU_DEP_1)
	v_mad_u64_u32 v[1:2], null, s15, s4, v[0:1]
	v_mov_b32_e32 v2, 0
	v_lshlrev_b64 v[4:5], 4, v[1:2]
	s_delay_alu instid0(VALU_DEP_1) | instskip(NEXT) | instid1(VALU_DEP_2)
	v_add_co_u32 v0, vcc_lo, s0, v4
	v_add_co_ci_u32_e32 v1, vcc_lo, s1, v5, vcc_lo
	v_add_co_u32 v4, vcc_lo, s2, v4
	v_add_co_ci_u32_e32 v5, vcc_lo, s3, v5, vcc_lo
	global_load_b128 v[0:3], v[0:1], off
	s_waitcnt vmcnt(0)
	global_store_b128 v[4:5], v[0:3], off
	s_nop 0
	s_sendmsg sendmsg(MSG_DEALLOC_VGPRS)
	s_endpgm
	.section	.rodata,"a",@progbits
	.p2align	6, 0x0
	.amdhsa_kernel _Z6kernelI14exclusive_scanoLj63ELj100EEvPKT0_PS1_S1_
		.amdhsa_group_segment_fixed_size 0
		.amdhsa_private_segment_fixed_size 0
		.amdhsa_kernarg_size 288
		.amdhsa_user_sgpr_count 15
		.amdhsa_user_sgpr_dispatch_ptr 0
		.amdhsa_user_sgpr_queue_ptr 0
		.amdhsa_user_sgpr_kernarg_segment_ptr 1
		.amdhsa_user_sgpr_dispatch_id 0
		.amdhsa_user_sgpr_private_segment_size 0
		.amdhsa_wavefront_size32 1
		.amdhsa_uses_dynamic_stack 0
		.amdhsa_enable_private_segment 0
		.amdhsa_system_sgpr_workgroup_id_x 1
		.amdhsa_system_sgpr_workgroup_id_y 0
		.amdhsa_system_sgpr_workgroup_id_z 0
		.amdhsa_system_sgpr_workgroup_info 0
		.amdhsa_system_vgpr_workitem_id 0
		.amdhsa_next_free_vgpr 6
		.amdhsa_next_free_sgpr 16
		.amdhsa_reserve_vcc 1
		.amdhsa_float_round_mode_32 0
		.amdhsa_float_round_mode_16_64 0
		.amdhsa_float_denorm_mode_32 3
		.amdhsa_float_denorm_mode_16_64 3
		.amdhsa_dx10_clamp 1
		.amdhsa_ieee_mode 1
		.amdhsa_fp16_overflow 0
		.amdhsa_workgroup_processor_mode 1
		.amdhsa_memory_ordered 1
		.amdhsa_forward_progress 0
		.amdhsa_shared_vgpr_count 0
		.amdhsa_exception_fp_ieee_invalid_op 0
		.amdhsa_exception_fp_denorm_src 0
		.amdhsa_exception_fp_ieee_div_zero 0
		.amdhsa_exception_fp_ieee_overflow 0
		.amdhsa_exception_fp_ieee_underflow 0
		.amdhsa_exception_fp_ieee_inexact 0
		.amdhsa_exception_int_div_zero 0
	.end_amdhsa_kernel
	.section	.text._Z6kernelI14exclusive_scanoLj63ELj100EEvPKT0_PS1_S1_,"axG",@progbits,_Z6kernelI14exclusive_scanoLj63ELj100EEvPKT0_PS1_S1_,comdat
.Lfunc_end117:
	.size	_Z6kernelI14exclusive_scanoLj63ELj100EEvPKT0_PS1_S1_, .Lfunc_end117-_Z6kernelI14exclusive_scanoLj63ELj100EEvPKT0_PS1_S1_
                                        ; -- End function
	.section	.AMDGPU.csdata,"",@progbits
; Kernel info:
; codeLenInByte = 116
; NumSgprs: 18
; NumVgprs: 6
; ScratchSize: 0
; MemoryBound: 0
; FloatMode: 240
; IeeeMode: 1
; LDSByteSize: 0 bytes/workgroup (compile time only)
; SGPRBlocks: 2
; VGPRBlocks: 0
; NumSGPRsForWavesPerEU: 18
; NumVGPRsForWavesPerEU: 6
; Occupancy: 16
; WaveLimiterHint : 0
; COMPUTE_PGM_RSRC2:SCRATCH_EN: 0
; COMPUTE_PGM_RSRC2:USER_SGPR: 15
; COMPUTE_PGM_RSRC2:TRAP_HANDLER: 0
; COMPUTE_PGM_RSRC2:TGID_X_EN: 1
; COMPUTE_PGM_RSRC2:TGID_Y_EN: 0
; COMPUTE_PGM_RSRC2:TGID_Z_EN: 0
; COMPUTE_PGM_RSRC2:TIDIG_COMP_CNT: 0
	.section	.text._Z6kernelI14exclusive_scanoLj31ELj100EEvPKT0_PS1_S1_,"axG",@progbits,_Z6kernelI14exclusive_scanoLj31ELj100EEvPKT0_PS1_S1_,comdat
	.protected	_Z6kernelI14exclusive_scanoLj31ELj100EEvPKT0_PS1_S1_ ; -- Begin function _Z6kernelI14exclusive_scanoLj31ELj100EEvPKT0_PS1_S1_
	.globl	_Z6kernelI14exclusive_scanoLj31ELj100EEvPKT0_PS1_S1_
	.p2align	8
	.type	_Z6kernelI14exclusive_scanoLj31ELj100EEvPKT0_PS1_S1_,@function
_Z6kernelI14exclusive_scanoLj31ELj100EEvPKT0_PS1_S1_: ; @_Z6kernelI14exclusive_scanoLj31ELj100EEvPKT0_PS1_S1_
; %bb.0:
	s_clause 0x1
	s_load_b32 s2, s[0:1], 0x2c
	s_load_b256 s[4:11], s[0:1], 0x0
	v_mbcnt_lo_u32_b32 v6, -1, 0
	s_delay_alu instid0(VALU_DEP_1) | instskip(NEXT) | instid1(VALU_DEP_1)
	v_mul_hi_u32 v7, 0x8421085, v6
	v_mul_u32_u24_e32 v7, 31, v7
	s_delay_alu instid0(VALU_DEP_1) | instskip(SKIP_2) | instid1(SALU_CYCLE_1)
	v_sub_nc_u32_e32 v7, v6, v7
	s_waitcnt lgkmcnt(0)
	s_and_b32 s0, s2, 0xffff
	v_mad_u64_u32 v[1:2], null, s15, s0, v[0:1]
	s_delay_alu instid0(VALU_DEP_2)
	v_lshlrev_b32_e32 v6, 4, v7
	v_mov_b32_e32 v2, 0
	v_cmp_ne_u32_e64 s0, 0, v7
	v_cmp_lt_u32_e64 s1, 1, v7
	v_cmp_lt_u32_e64 s2, 3, v7
	;; [unrolled: 1-line block ×3, first 2 shown]
	v_lshlrev_b64 v[4:5], 4, v[1:2]
	v_subrev_nc_u32_e32 v8, 32, v6
	v_subrev_nc_u32_e32 v9, 64, v6
	v_add_nc_u32_e32 v10, 0xffffff80, v6
	v_add_nc_u32_e32 v11, 0xffffff00, v6
	v_add_co_u32 v0, vcc_lo, s4, v4
	v_add_co_ci_u32_e32 v1, vcc_lo, s5, v5, vcc_lo
	v_cmp_lt_u32_e64 s4, 15, v7
	v_add_nc_u32_e32 v7, -16, v6
	s_movk_i32 s5, 0x64
	global_load_b128 v[0:3], v[0:1], off
	s_branch .LBB118_2
.LBB118_1:                              ;   in Loop: Header=BB118_2 Depth=1
	s_or_b32 exec_lo, exec_lo, s12
	s_add_i32 s5, s5, -1
	s_delay_alu instid0(SALU_CYCLE_1)
	s_cmp_lg_u32 s5, 0
	s_cbranch_scc0 .LBB118_24
.LBB118_2:                              ; =>This Inner Loop Header: Depth=1
	s_waitcnt vmcnt(0)
	ds_store_b128 v6, v[0:3]
	; wave barrier
	s_and_saveexec_b32 s12, s0
	s_cbranch_execz .LBB118_4
; %bb.3:                                ;   in Loop: Header=BB118_2 Depth=1
	ds_load_b128 v[12:15], v7
	s_waitcnt lgkmcnt(0)
	v_add_co_u32 v0, vcc_lo, v12, v0
	v_add_co_ci_u32_e32 v1, vcc_lo, v13, v1, vcc_lo
	v_add_co_ci_u32_e32 v2, vcc_lo, v14, v2, vcc_lo
	;; [unrolled: 1-line block ×3, first 2 shown]
.LBB118_4:                              ;   in Loop: Header=BB118_2 Depth=1
	s_or_b32 exec_lo, exec_lo, s12
	; wave barrier
	s_and_saveexec_b32 s12, s0
	s_cbranch_execz .LBB118_6
; %bb.5:                                ;   in Loop: Header=BB118_2 Depth=1
	ds_store_b128 v6, v[0:3]
.LBB118_6:                              ;   in Loop: Header=BB118_2 Depth=1
	s_or_b32 exec_lo, exec_lo, s12
	; wave barrier
	s_and_saveexec_b32 s12, s1
	s_cbranch_execz .LBB118_8
; %bb.7:                                ;   in Loop: Header=BB118_2 Depth=1
	ds_load_b128 v[12:15], v8
	s_waitcnt lgkmcnt(0)
	v_add_co_u32 v0, vcc_lo, v12, v0
	v_add_co_ci_u32_e32 v1, vcc_lo, v13, v1, vcc_lo
	v_add_co_ci_u32_e32 v2, vcc_lo, v14, v2, vcc_lo
	;; [unrolled: 1-line block ×3, first 2 shown]
.LBB118_8:                              ;   in Loop: Header=BB118_2 Depth=1
	s_or_b32 exec_lo, exec_lo, s12
	; wave barrier
	s_and_saveexec_b32 s12, s1
	s_cbranch_execz .LBB118_10
; %bb.9:                                ;   in Loop: Header=BB118_2 Depth=1
	ds_store_b128 v6, v[0:3]
.LBB118_10:                             ;   in Loop: Header=BB118_2 Depth=1
	s_or_b32 exec_lo, exec_lo, s12
	; wave barrier
	s_and_saveexec_b32 s12, s2
	s_cbranch_execz .LBB118_12
; %bb.11:                               ;   in Loop: Header=BB118_2 Depth=1
	ds_load_b128 v[12:15], v9
	s_waitcnt lgkmcnt(0)
	v_add_co_u32 v0, vcc_lo, v12, v0
	v_add_co_ci_u32_e32 v1, vcc_lo, v13, v1, vcc_lo
	v_add_co_ci_u32_e32 v2, vcc_lo, v14, v2, vcc_lo
	v_add_co_ci_u32_e32 v3, vcc_lo, v15, v3, vcc_lo
.LBB118_12:                             ;   in Loop: Header=BB118_2 Depth=1
	s_or_b32 exec_lo, exec_lo, s12
	; wave barrier
	s_and_saveexec_b32 s12, s2
	s_cbranch_execz .LBB118_14
; %bb.13:                               ;   in Loop: Header=BB118_2 Depth=1
	ds_store_b128 v6, v[0:3]
.LBB118_14:                             ;   in Loop: Header=BB118_2 Depth=1
	s_or_b32 exec_lo, exec_lo, s12
	; wave barrier
	s_and_saveexec_b32 s12, s3
	s_cbranch_execz .LBB118_16
; %bb.15:                               ;   in Loop: Header=BB118_2 Depth=1
	ds_load_b128 v[12:15], v10
	s_waitcnt lgkmcnt(0)
	v_add_co_u32 v0, vcc_lo, v12, v0
	v_add_co_ci_u32_e32 v1, vcc_lo, v13, v1, vcc_lo
	v_add_co_ci_u32_e32 v2, vcc_lo, v14, v2, vcc_lo
	v_add_co_ci_u32_e32 v3, vcc_lo, v15, v3, vcc_lo
.LBB118_16:                             ;   in Loop: Header=BB118_2 Depth=1
	s_or_b32 exec_lo, exec_lo, s12
	; wave barrier
	s_and_saveexec_b32 s12, s3
	s_cbranch_execz .LBB118_18
; %bb.17:                               ;   in Loop: Header=BB118_2 Depth=1
	ds_store_b128 v6, v[0:3]
.LBB118_18:                             ;   in Loop: Header=BB118_2 Depth=1
	;; [unrolled: 19-line block ×3, first 2 shown]
	s_or_b32 exec_lo, exec_lo, s12
	v_dual_mov_b32 v0, s8 :: v_dual_mov_b32 v1, s9
	v_dual_mov_b32 v2, s10 :: v_dual_mov_b32 v3, s11
	; wave barrier
	s_and_saveexec_b32 s12, s0
	s_cbranch_execz .LBB118_1
; %bb.23:                               ;   in Loop: Header=BB118_2 Depth=1
	ds_load_b128 v[0:3], v7
	s_waitcnt lgkmcnt(0)
	v_add_co_u32 v0, vcc_lo, v0, s8
	v_add_co_ci_u32_e32 v1, vcc_lo, s9, v1, vcc_lo
	v_add_co_ci_u32_e32 v2, vcc_lo, s10, v2, vcc_lo
	;; [unrolled: 1-line block ×3, first 2 shown]
	s_branch .LBB118_1
.LBB118_24:
	v_add_co_u32 v4, vcc_lo, s6, v4
	v_add_co_ci_u32_e32 v5, vcc_lo, s7, v5, vcc_lo
	global_store_b128 v[4:5], v[0:3], off
	s_nop 0
	s_sendmsg sendmsg(MSG_DEALLOC_VGPRS)
	s_endpgm
	.section	.rodata,"a",@progbits
	.p2align	6, 0x0
	.amdhsa_kernel _Z6kernelI14exclusive_scanoLj31ELj100EEvPKT0_PS1_S1_
		.amdhsa_group_segment_fixed_size 496
		.amdhsa_private_segment_fixed_size 0
		.amdhsa_kernarg_size 288
		.amdhsa_user_sgpr_count 15
		.amdhsa_user_sgpr_dispatch_ptr 0
		.amdhsa_user_sgpr_queue_ptr 0
		.amdhsa_user_sgpr_kernarg_segment_ptr 1
		.amdhsa_user_sgpr_dispatch_id 0
		.amdhsa_user_sgpr_private_segment_size 0
		.amdhsa_wavefront_size32 1
		.amdhsa_uses_dynamic_stack 0
		.amdhsa_enable_private_segment 0
		.amdhsa_system_sgpr_workgroup_id_x 1
		.amdhsa_system_sgpr_workgroup_id_y 0
		.amdhsa_system_sgpr_workgroup_id_z 0
		.amdhsa_system_sgpr_workgroup_info 0
		.amdhsa_system_vgpr_workitem_id 0
		.amdhsa_next_free_vgpr 16
		.amdhsa_next_free_sgpr 16
		.amdhsa_reserve_vcc 1
		.amdhsa_float_round_mode_32 0
		.amdhsa_float_round_mode_16_64 0
		.amdhsa_float_denorm_mode_32 3
		.amdhsa_float_denorm_mode_16_64 3
		.amdhsa_dx10_clamp 1
		.amdhsa_ieee_mode 1
		.amdhsa_fp16_overflow 0
		.amdhsa_workgroup_processor_mode 1
		.amdhsa_memory_ordered 1
		.amdhsa_forward_progress 0
		.amdhsa_shared_vgpr_count 0
		.amdhsa_exception_fp_ieee_invalid_op 0
		.amdhsa_exception_fp_denorm_src 0
		.amdhsa_exception_fp_ieee_div_zero 0
		.amdhsa_exception_fp_ieee_overflow 0
		.amdhsa_exception_fp_ieee_underflow 0
		.amdhsa_exception_fp_ieee_inexact 0
		.amdhsa_exception_int_div_zero 0
	.end_amdhsa_kernel
	.section	.text._Z6kernelI14exclusive_scanoLj31ELj100EEvPKT0_PS1_S1_,"axG",@progbits,_Z6kernelI14exclusive_scanoLj31ELj100EEvPKT0_PS1_S1_,comdat
.Lfunc_end118:
	.size	_Z6kernelI14exclusive_scanoLj31ELj100EEvPKT0_PS1_S1_, .Lfunc_end118-_Z6kernelI14exclusive_scanoLj31ELj100EEvPKT0_PS1_S1_
                                        ; -- End function
	.section	.AMDGPU.csdata,"",@progbits
; Kernel info:
; codeLenInByte = 636
; NumSgprs: 18
; NumVgprs: 16
; ScratchSize: 0
; MemoryBound: 0
; FloatMode: 240
; IeeeMode: 1
; LDSByteSize: 496 bytes/workgroup (compile time only)
; SGPRBlocks: 2
; VGPRBlocks: 1
; NumSGPRsForWavesPerEU: 18
; NumVGPRsForWavesPerEU: 16
; Occupancy: 16
; WaveLimiterHint : 0
; COMPUTE_PGM_RSRC2:SCRATCH_EN: 0
; COMPUTE_PGM_RSRC2:USER_SGPR: 15
; COMPUTE_PGM_RSRC2:TRAP_HANDLER: 0
; COMPUTE_PGM_RSRC2:TGID_X_EN: 1
; COMPUTE_PGM_RSRC2:TGID_Y_EN: 0
; COMPUTE_PGM_RSRC2:TGID_Z_EN: 0
; COMPUTE_PGM_RSRC2:TIDIG_COMP_CNT: 0
	.section	.text._Z6kernelI14exclusive_scanoLj15ELj100EEvPKT0_PS1_S1_,"axG",@progbits,_Z6kernelI14exclusive_scanoLj15ELj100EEvPKT0_PS1_S1_,comdat
	.protected	_Z6kernelI14exclusive_scanoLj15ELj100EEvPKT0_PS1_S1_ ; -- Begin function _Z6kernelI14exclusive_scanoLj15ELj100EEvPKT0_PS1_S1_
	.globl	_Z6kernelI14exclusive_scanoLj15ELj100EEvPKT0_PS1_S1_
	.p2align	8
	.type	_Z6kernelI14exclusive_scanoLj15ELj100EEvPKT0_PS1_S1_,@function
_Z6kernelI14exclusive_scanoLj15ELj100EEvPKT0_PS1_S1_: ; @_Z6kernelI14exclusive_scanoLj15ELj100EEvPKT0_PS1_S1_
; %bb.0:
	s_clause 0x1
	s_load_b32 s2, s[0:1], 0x2c
	s_load_b256 s[4:11], s[0:1], 0x0
	v_mbcnt_lo_u32_b32 v6, -1, 0
	s_delay_alu instid0(VALU_DEP_1) | instskip(NEXT) | instid1(VALU_DEP_1)
	v_mul_hi_u32 v7, 0x11111112, v6
	v_mul_u32_u24_e32 v7, 15, v7
	s_delay_alu instid0(VALU_DEP_1) | instskip(SKIP_2) | instid1(SALU_CYCLE_1)
	v_sub_nc_u32_e32 v7, v6, v7
	s_waitcnt lgkmcnt(0)
	s_and_b32 s0, s2, 0xffff
	v_mad_u64_u32 v[1:2], null, s15, s0, v[0:1]
	s_delay_alu instid0(VALU_DEP_2)
	v_lshlrev_b32_e32 v6, 4, v7
	v_mov_b32_e32 v2, 0
	v_cmp_ne_u32_e64 s0, 0, v7
	v_cmp_lt_u32_e64 s1, 1, v7
	v_cmp_lt_u32_e64 s2, 3, v7
	;; [unrolled: 1-line block ×3, first 2 shown]
	v_add_nc_u32_e32 v7, -16, v6
	v_lshlrev_b64 v[4:5], 4, v[1:2]
	v_subrev_nc_u32_e32 v8, 32, v6
	v_subrev_nc_u32_e32 v9, 64, v6
	v_add_nc_u32_e32 v10, 0xffffff80, v6
	s_delay_alu instid0(VALU_DEP_4)
	v_add_co_u32 v0, vcc_lo, s4, v4
	v_add_co_ci_u32_e32 v1, vcc_lo, s5, v5, vcc_lo
	s_movk_i32 s4, 0x64
	global_load_b128 v[0:3], v[0:1], off
	s_branch .LBB119_2
.LBB119_1:                              ;   in Loop: Header=BB119_2 Depth=1
	s_or_b32 exec_lo, exec_lo, s5
	s_add_i32 s4, s4, -1
	s_delay_alu instid0(SALU_CYCLE_1)
	s_cmp_lg_u32 s4, 0
	s_cbranch_scc0 .LBB119_20
.LBB119_2:                              ; =>This Inner Loop Header: Depth=1
	s_waitcnt vmcnt(0)
	ds_store_b128 v6, v[0:3]
	; wave barrier
	s_and_saveexec_b32 s5, s0
	s_cbranch_execz .LBB119_4
; %bb.3:                                ;   in Loop: Header=BB119_2 Depth=1
	ds_load_b128 v[11:14], v7
	s_waitcnt lgkmcnt(0)
	v_add_co_u32 v0, vcc_lo, v11, v0
	v_add_co_ci_u32_e32 v1, vcc_lo, v12, v1, vcc_lo
	v_add_co_ci_u32_e32 v2, vcc_lo, v13, v2, vcc_lo
	;; [unrolled: 1-line block ×3, first 2 shown]
.LBB119_4:                              ;   in Loop: Header=BB119_2 Depth=1
	s_or_b32 exec_lo, exec_lo, s5
	; wave barrier
	s_and_saveexec_b32 s5, s0
	s_cbranch_execz .LBB119_6
; %bb.5:                                ;   in Loop: Header=BB119_2 Depth=1
	ds_store_b128 v6, v[0:3]
.LBB119_6:                              ;   in Loop: Header=BB119_2 Depth=1
	s_or_b32 exec_lo, exec_lo, s5
	; wave barrier
	s_and_saveexec_b32 s5, s1
	s_cbranch_execz .LBB119_8
; %bb.7:                                ;   in Loop: Header=BB119_2 Depth=1
	ds_load_b128 v[11:14], v8
	s_waitcnt lgkmcnt(0)
	v_add_co_u32 v0, vcc_lo, v11, v0
	v_add_co_ci_u32_e32 v1, vcc_lo, v12, v1, vcc_lo
	v_add_co_ci_u32_e32 v2, vcc_lo, v13, v2, vcc_lo
	;; [unrolled: 1-line block ×3, first 2 shown]
.LBB119_8:                              ;   in Loop: Header=BB119_2 Depth=1
	s_or_b32 exec_lo, exec_lo, s5
	; wave barrier
	s_and_saveexec_b32 s5, s1
	s_cbranch_execz .LBB119_10
; %bb.9:                                ;   in Loop: Header=BB119_2 Depth=1
	ds_store_b128 v6, v[0:3]
.LBB119_10:                             ;   in Loop: Header=BB119_2 Depth=1
	s_or_b32 exec_lo, exec_lo, s5
	; wave barrier
	s_and_saveexec_b32 s5, s2
	s_cbranch_execz .LBB119_12
; %bb.11:                               ;   in Loop: Header=BB119_2 Depth=1
	ds_load_b128 v[11:14], v9
	s_waitcnt lgkmcnt(0)
	v_add_co_u32 v0, vcc_lo, v11, v0
	v_add_co_ci_u32_e32 v1, vcc_lo, v12, v1, vcc_lo
	v_add_co_ci_u32_e32 v2, vcc_lo, v13, v2, vcc_lo
	;; [unrolled: 1-line block ×3, first 2 shown]
.LBB119_12:                             ;   in Loop: Header=BB119_2 Depth=1
	s_or_b32 exec_lo, exec_lo, s5
	; wave barrier
	s_and_saveexec_b32 s5, s2
	s_cbranch_execz .LBB119_14
; %bb.13:                               ;   in Loop: Header=BB119_2 Depth=1
	ds_store_b128 v6, v[0:3]
.LBB119_14:                             ;   in Loop: Header=BB119_2 Depth=1
	s_or_b32 exec_lo, exec_lo, s5
	; wave barrier
	s_and_saveexec_b32 s5, s3
	s_cbranch_execz .LBB119_16
; %bb.15:                               ;   in Loop: Header=BB119_2 Depth=1
	ds_load_b128 v[11:14], v10
	s_waitcnt lgkmcnt(0)
	v_add_co_u32 v0, vcc_lo, v11, v0
	v_add_co_ci_u32_e32 v1, vcc_lo, v12, v1, vcc_lo
	v_add_co_ci_u32_e32 v2, vcc_lo, v13, v2, vcc_lo
	;; [unrolled: 1-line block ×3, first 2 shown]
.LBB119_16:                             ;   in Loop: Header=BB119_2 Depth=1
	s_or_b32 exec_lo, exec_lo, s5
	; wave barrier
	s_and_saveexec_b32 s5, s3
	s_cbranch_execz .LBB119_18
; %bb.17:                               ;   in Loop: Header=BB119_2 Depth=1
	ds_store_b128 v6, v[0:3]
.LBB119_18:                             ;   in Loop: Header=BB119_2 Depth=1
	s_or_b32 exec_lo, exec_lo, s5
	v_dual_mov_b32 v0, s8 :: v_dual_mov_b32 v1, s9
	v_dual_mov_b32 v2, s10 :: v_dual_mov_b32 v3, s11
	; wave barrier
	s_and_saveexec_b32 s5, s0
	s_cbranch_execz .LBB119_1
; %bb.19:                               ;   in Loop: Header=BB119_2 Depth=1
	ds_load_b128 v[0:3], v7
	s_waitcnt lgkmcnt(0)
	v_add_co_u32 v0, vcc_lo, v0, s8
	v_add_co_ci_u32_e32 v1, vcc_lo, s9, v1, vcc_lo
	v_add_co_ci_u32_e32 v2, vcc_lo, s10, v2, vcc_lo
	;; [unrolled: 1-line block ×3, first 2 shown]
	s_branch .LBB119_1
.LBB119_20:
	v_add_co_u32 v4, vcc_lo, s6, v4
	v_add_co_ci_u32_e32 v5, vcc_lo, s7, v5, vcc_lo
	global_store_b128 v[4:5], v[0:3], off
	s_nop 0
	s_sendmsg sendmsg(MSG_DEALLOC_VGPRS)
	s_endpgm
	.section	.rodata,"a",@progbits
	.p2align	6, 0x0
	.amdhsa_kernel _Z6kernelI14exclusive_scanoLj15ELj100EEvPKT0_PS1_S1_
		.amdhsa_group_segment_fixed_size 240
		.amdhsa_private_segment_fixed_size 0
		.amdhsa_kernarg_size 288
		.amdhsa_user_sgpr_count 15
		.amdhsa_user_sgpr_dispatch_ptr 0
		.amdhsa_user_sgpr_queue_ptr 0
		.amdhsa_user_sgpr_kernarg_segment_ptr 1
		.amdhsa_user_sgpr_dispatch_id 0
		.amdhsa_user_sgpr_private_segment_size 0
		.amdhsa_wavefront_size32 1
		.amdhsa_uses_dynamic_stack 0
		.amdhsa_enable_private_segment 0
		.amdhsa_system_sgpr_workgroup_id_x 1
		.amdhsa_system_sgpr_workgroup_id_y 0
		.amdhsa_system_sgpr_workgroup_id_z 0
		.amdhsa_system_sgpr_workgroup_info 0
		.amdhsa_system_vgpr_workitem_id 0
		.amdhsa_next_free_vgpr 15
		.amdhsa_next_free_sgpr 16
		.amdhsa_reserve_vcc 1
		.amdhsa_float_round_mode_32 0
		.amdhsa_float_round_mode_16_64 0
		.amdhsa_float_denorm_mode_32 3
		.amdhsa_float_denorm_mode_16_64 3
		.amdhsa_dx10_clamp 1
		.amdhsa_ieee_mode 1
		.amdhsa_fp16_overflow 0
		.amdhsa_workgroup_processor_mode 1
		.amdhsa_memory_ordered 1
		.amdhsa_forward_progress 0
		.amdhsa_shared_vgpr_count 0
		.amdhsa_exception_fp_ieee_invalid_op 0
		.amdhsa_exception_fp_denorm_src 0
		.amdhsa_exception_fp_ieee_div_zero 0
		.amdhsa_exception_fp_ieee_overflow 0
		.amdhsa_exception_fp_ieee_underflow 0
		.amdhsa_exception_fp_ieee_inexact 0
		.amdhsa_exception_int_div_zero 0
	.end_amdhsa_kernel
	.section	.text._Z6kernelI14exclusive_scanoLj15ELj100EEvPKT0_PS1_S1_,"axG",@progbits,_Z6kernelI14exclusive_scanoLj15ELj100EEvPKT0_PS1_S1_,comdat
.Lfunc_end119:
	.size	_Z6kernelI14exclusive_scanoLj15ELj100EEvPKT0_PS1_S1_, .Lfunc_end119-_Z6kernelI14exclusive_scanoLj15ELj100EEvPKT0_PS1_S1_
                                        ; -- End function
	.section	.AMDGPU.csdata,"",@progbits
; Kernel info:
; codeLenInByte = 560
; NumSgprs: 18
; NumVgprs: 15
; ScratchSize: 0
; MemoryBound: 0
; FloatMode: 240
; IeeeMode: 1
; LDSByteSize: 240 bytes/workgroup (compile time only)
; SGPRBlocks: 2
; VGPRBlocks: 1
; NumSGPRsForWavesPerEU: 18
; NumVGPRsForWavesPerEU: 15
; Occupancy: 16
; WaveLimiterHint : 0
; COMPUTE_PGM_RSRC2:SCRATCH_EN: 0
; COMPUTE_PGM_RSRC2:USER_SGPR: 15
; COMPUTE_PGM_RSRC2:TRAP_HANDLER: 0
; COMPUTE_PGM_RSRC2:TGID_X_EN: 1
; COMPUTE_PGM_RSRC2:TGID_Y_EN: 0
; COMPUTE_PGM_RSRC2:TGID_Z_EN: 0
; COMPUTE_PGM_RSRC2:TIDIG_COMP_CNT: 0
	.section	.text._Z6kernelI9broadcastiLj64ELj100EEvPKT0_PS1_S1_,"axG",@progbits,_Z6kernelI9broadcastiLj64ELj100EEvPKT0_PS1_S1_,comdat
	.protected	_Z6kernelI9broadcastiLj64ELj100EEvPKT0_PS1_S1_ ; -- Begin function _Z6kernelI9broadcastiLj64ELj100EEvPKT0_PS1_S1_
	.globl	_Z6kernelI9broadcastiLj64ELj100EEvPKT0_PS1_S1_
	.p2align	8
	.type	_Z6kernelI9broadcastiLj64ELj100EEvPKT0_PS1_S1_,@function
_Z6kernelI9broadcastiLj64ELj100EEvPKT0_PS1_S1_: ; @_Z6kernelI9broadcastiLj64ELj100EEvPKT0_PS1_S1_
; %bb.0:
	s_clause 0x1
	s_load_b32 s2, s[0:1], 0x24
	s_load_b64 s[0:1], s[0:1], 0x8
	s_waitcnt lgkmcnt(0)
	s_and_b32 s2, s2, 0xffff
	s_delay_alu instid0(SALU_CYCLE_1) | instskip(SKIP_1) | instid1(VALU_DEP_1)
	v_mad_u64_u32 v[1:2], null, s15, s2, v[0:1]
	v_mov_b32_e32 v2, 0
	v_lshlrev_b64 v[0:1], 2, v[1:2]
	s_delay_alu instid0(VALU_DEP_1) | instskip(NEXT) | instid1(VALU_DEP_2)
	v_add_co_u32 v0, vcc_lo, s0, v0
	v_add_co_ci_u32_e32 v1, vcc_lo, s1, v1, vcc_lo
	global_store_b32 v[0:1], v2, off
	s_nop 0
	s_sendmsg sendmsg(MSG_DEALLOC_VGPRS)
	s_endpgm
	.section	.rodata,"a",@progbits
	.p2align	6, 0x0
	.amdhsa_kernel _Z6kernelI9broadcastiLj64ELj100EEvPKT0_PS1_S1_
		.amdhsa_group_segment_fixed_size 0
		.amdhsa_private_segment_fixed_size 0
		.amdhsa_kernarg_size 280
		.amdhsa_user_sgpr_count 15
		.amdhsa_user_sgpr_dispatch_ptr 0
		.amdhsa_user_sgpr_queue_ptr 0
		.amdhsa_user_sgpr_kernarg_segment_ptr 1
		.amdhsa_user_sgpr_dispatch_id 0
		.amdhsa_user_sgpr_private_segment_size 0
		.amdhsa_wavefront_size32 1
		.amdhsa_uses_dynamic_stack 0
		.amdhsa_enable_private_segment 0
		.amdhsa_system_sgpr_workgroup_id_x 1
		.amdhsa_system_sgpr_workgroup_id_y 0
		.amdhsa_system_sgpr_workgroup_id_z 0
		.amdhsa_system_sgpr_workgroup_info 0
		.amdhsa_system_vgpr_workitem_id 0
		.amdhsa_next_free_vgpr 3
		.amdhsa_next_free_sgpr 16
		.amdhsa_reserve_vcc 1
		.amdhsa_float_round_mode_32 0
		.amdhsa_float_round_mode_16_64 0
		.amdhsa_float_denorm_mode_32 3
		.amdhsa_float_denorm_mode_16_64 3
		.amdhsa_dx10_clamp 1
		.amdhsa_ieee_mode 1
		.amdhsa_fp16_overflow 0
		.amdhsa_workgroup_processor_mode 1
		.amdhsa_memory_ordered 1
		.amdhsa_forward_progress 0
		.amdhsa_shared_vgpr_count 0
		.amdhsa_exception_fp_ieee_invalid_op 0
		.amdhsa_exception_fp_denorm_src 0
		.amdhsa_exception_fp_ieee_div_zero 0
		.amdhsa_exception_fp_ieee_overflow 0
		.amdhsa_exception_fp_ieee_underflow 0
		.amdhsa_exception_fp_ieee_inexact 0
		.amdhsa_exception_int_div_zero 0
	.end_amdhsa_kernel
	.section	.text._Z6kernelI9broadcastiLj64ELj100EEvPKT0_PS1_S1_,"axG",@progbits,_Z6kernelI9broadcastiLj64ELj100EEvPKT0_PS1_S1_,comdat
.Lfunc_end120:
	.size	_Z6kernelI9broadcastiLj64ELj100EEvPKT0_PS1_S1_, .Lfunc_end120-_Z6kernelI9broadcastiLj64ELj100EEvPKT0_PS1_S1_
                                        ; -- End function
	.section	.AMDGPU.csdata,"",@progbits
; Kernel info:
; codeLenInByte = 92
; NumSgprs: 18
; NumVgprs: 3
; ScratchSize: 0
; MemoryBound: 0
; FloatMode: 240
; IeeeMode: 1
; LDSByteSize: 0 bytes/workgroup (compile time only)
; SGPRBlocks: 2
; VGPRBlocks: 0
; NumSGPRsForWavesPerEU: 18
; NumVGPRsForWavesPerEU: 3
; Occupancy: 16
; WaveLimiterHint : 0
; COMPUTE_PGM_RSRC2:SCRATCH_EN: 0
; COMPUTE_PGM_RSRC2:USER_SGPR: 15
; COMPUTE_PGM_RSRC2:TRAP_HANDLER: 0
; COMPUTE_PGM_RSRC2:TGID_X_EN: 1
; COMPUTE_PGM_RSRC2:TGID_Y_EN: 0
; COMPUTE_PGM_RSRC2:TGID_Z_EN: 0
; COMPUTE_PGM_RSRC2:TIDIG_COMP_CNT: 0
	.section	.text._Z6kernelI9broadcastiLj32ELj100EEvPKT0_PS1_S1_,"axG",@progbits,_Z6kernelI9broadcastiLj32ELj100EEvPKT0_PS1_S1_,comdat
	.protected	_Z6kernelI9broadcastiLj32ELj100EEvPKT0_PS1_S1_ ; -- Begin function _Z6kernelI9broadcastiLj32ELj100EEvPKT0_PS1_S1_
	.globl	_Z6kernelI9broadcastiLj32ELj100EEvPKT0_PS1_S1_
	.p2align	8
	.type	_Z6kernelI9broadcastiLj32ELj100EEvPKT0_PS1_S1_,@function
_Z6kernelI9broadcastiLj32ELj100EEvPKT0_PS1_S1_: ; @_Z6kernelI9broadcastiLj32ELj100EEvPKT0_PS1_S1_
; %bb.0:
	s_clause 0x1
	s_load_b32 s4, s[0:1], 0x24
	s_load_b128 s[0:3], s[0:1], 0x0
	s_waitcnt lgkmcnt(0)
	s_and_b32 s4, s4, 0xffff
	s_delay_alu instid0(SALU_CYCLE_1) | instskip(SKIP_1) | instid1(VALU_DEP_1)
	v_mad_u64_u32 v[2:3], null, s15, s4, v[0:1]
	v_mov_b32_e32 v3, 0
	v_lshlrev_b64 v[0:1], 2, v[2:3]
	v_bfe_u32 v2, v2, 5, 5
	s_delay_alu instid0(VALU_DEP_2) | instskip(NEXT) | instid1(VALU_DEP_3)
	v_add_co_u32 v3, vcc_lo, s0, v0
	v_add_co_ci_u32_e32 v4, vcc_lo, s1, v1, vcc_lo
	s_movk_i32 s0, 0x64
	global_load_b32 v3, v[3:4], off
.LBB121_1:                              ; =>This Inner Loop Header: Depth=1
	v_readfirstlane_b32 s1, v2
	s_add_i32 s0, s0, -1
	s_delay_alu instid0(SALU_CYCLE_1) | instskip(SKIP_1) | instid1(VALU_DEP_1)
	s_cmp_lg_u32 s0, 0
	s_waitcnt vmcnt(0)
	v_readlane_b32 s1, v3, s1
	s_delay_alu instid0(VALU_DEP_1)
	v_mov_b32_e32 v3, s1
	s_cbranch_scc1 .LBB121_1
; %bb.2:
	v_add_co_u32 v0, vcc_lo, s2, v0
	v_add_co_ci_u32_e32 v1, vcc_lo, s3, v1, vcc_lo
	v_mov_b32_e32 v2, s1
	global_store_b32 v[0:1], v2, off
	s_nop 0
	s_sendmsg sendmsg(MSG_DEALLOC_VGPRS)
	s_endpgm
	.section	.rodata,"a",@progbits
	.p2align	6, 0x0
	.amdhsa_kernel _Z6kernelI9broadcastiLj32ELj100EEvPKT0_PS1_S1_
		.amdhsa_group_segment_fixed_size 0
		.amdhsa_private_segment_fixed_size 0
		.amdhsa_kernarg_size 280
		.amdhsa_user_sgpr_count 15
		.amdhsa_user_sgpr_dispatch_ptr 0
		.amdhsa_user_sgpr_queue_ptr 0
		.amdhsa_user_sgpr_kernarg_segment_ptr 1
		.amdhsa_user_sgpr_dispatch_id 0
		.amdhsa_user_sgpr_private_segment_size 0
		.amdhsa_wavefront_size32 1
		.amdhsa_uses_dynamic_stack 0
		.amdhsa_enable_private_segment 0
		.amdhsa_system_sgpr_workgroup_id_x 1
		.amdhsa_system_sgpr_workgroup_id_y 0
		.amdhsa_system_sgpr_workgroup_id_z 0
		.amdhsa_system_sgpr_workgroup_info 0
		.amdhsa_system_vgpr_workitem_id 0
		.amdhsa_next_free_vgpr 5
		.amdhsa_next_free_sgpr 16
		.amdhsa_reserve_vcc 1
		.amdhsa_float_round_mode_32 0
		.amdhsa_float_round_mode_16_64 0
		.amdhsa_float_denorm_mode_32 3
		.amdhsa_float_denorm_mode_16_64 3
		.amdhsa_dx10_clamp 1
		.amdhsa_ieee_mode 1
		.amdhsa_fp16_overflow 0
		.amdhsa_workgroup_processor_mode 1
		.amdhsa_memory_ordered 1
		.amdhsa_forward_progress 0
		.amdhsa_shared_vgpr_count 0
		.amdhsa_exception_fp_ieee_invalid_op 0
		.amdhsa_exception_fp_denorm_src 0
		.amdhsa_exception_fp_ieee_div_zero 0
		.amdhsa_exception_fp_ieee_overflow 0
		.amdhsa_exception_fp_ieee_underflow 0
		.amdhsa_exception_fp_ieee_inexact 0
		.amdhsa_exception_int_div_zero 0
	.end_amdhsa_kernel
	.section	.text._Z6kernelI9broadcastiLj32ELj100EEvPKT0_PS1_S1_,"axG",@progbits,_Z6kernelI9broadcastiLj32ELj100EEvPKT0_PS1_S1_,comdat
.Lfunc_end121:
	.size	_Z6kernelI9broadcastiLj32ELj100EEvPKT0_PS1_S1_, .Lfunc_end121-_Z6kernelI9broadcastiLj32ELj100EEvPKT0_PS1_S1_
                                        ; -- End function
	.section	.AMDGPU.csdata,"",@progbits
; Kernel info:
; codeLenInByte = 168
; NumSgprs: 18
; NumVgprs: 5
; ScratchSize: 0
; MemoryBound: 0
; FloatMode: 240
; IeeeMode: 1
; LDSByteSize: 0 bytes/workgroup (compile time only)
; SGPRBlocks: 2
; VGPRBlocks: 0
; NumSGPRsForWavesPerEU: 18
; NumVGPRsForWavesPerEU: 5
; Occupancy: 16
; WaveLimiterHint : 0
; COMPUTE_PGM_RSRC2:SCRATCH_EN: 0
; COMPUTE_PGM_RSRC2:USER_SGPR: 15
; COMPUTE_PGM_RSRC2:TRAP_HANDLER: 0
; COMPUTE_PGM_RSRC2:TGID_X_EN: 1
; COMPUTE_PGM_RSRC2:TGID_Y_EN: 0
; COMPUTE_PGM_RSRC2:TGID_Z_EN: 0
; COMPUTE_PGM_RSRC2:TIDIG_COMP_CNT: 0
	.section	.text._Z6kernelI9broadcastiLj16ELj100EEvPKT0_PS1_S1_,"axG",@progbits,_Z6kernelI9broadcastiLj16ELj100EEvPKT0_PS1_S1_,comdat
	.protected	_Z6kernelI9broadcastiLj16ELj100EEvPKT0_PS1_S1_ ; -- Begin function _Z6kernelI9broadcastiLj16ELj100EEvPKT0_PS1_S1_
	.globl	_Z6kernelI9broadcastiLj16ELj100EEvPKT0_PS1_S1_
	.p2align	8
	.type	_Z6kernelI9broadcastiLj16ELj100EEvPKT0_PS1_S1_,@function
_Z6kernelI9broadcastiLj16ELj100EEvPKT0_PS1_S1_: ; @_Z6kernelI9broadcastiLj16ELj100EEvPKT0_PS1_S1_
; %bb.0:
	s_clause 0x1
	s_load_b32 s4, s[0:1], 0x24
	s_load_b128 s[0:3], s[0:1], 0x0
	s_waitcnt lgkmcnt(0)
	s_and_b32 s4, s4, 0xffff
	s_delay_alu instid0(SALU_CYCLE_1) | instskip(SKIP_1) | instid1(VALU_DEP_1)
	v_mad_u64_u32 v[3:4], null, s15, s4, v[0:1]
	v_mov_b32_e32 v4, 0
	v_lshlrev_b64 v[0:1], 2, v[3:4]
	v_lshrrev_b32_e32 v3, 4, v3
	s_delay_alu instid0(VALU_DEP_2) | instskip(NEXT) | instid1(VALU_DEP_3)
	v_add_co_u32 v4, vcc_lo, s0, v0
	v_add_co_ci_u32_e32 v5, vcc_lo, s1, v1, vcc_lo
	s_movk_i32 s0, 0x64
	global_load_b32 v2, v[4:5], off
	v_mbcnt_lo_u32_b32 v4, -1, 0
	s_delay_alu instid0(VALU_DEP_1) | instskip(NEXT) | instid1(VALU_DEP_1)
	v_and_b32_e32 v4, 16, v4
	v_and_or_b32 v3, v3, 15, v4
	s_delay_alu instid0(VALU_DEP_1)
	v_lshlrev_b32_e32 v3, 2, v3
.LBB122_1:                              ; =>This Inner Loop Header: Depth=1
	s_waitcnt vmcnt(0) lgkmcnt(0)
	ds_bpermute_b32 v2, v3, v2
	s_add_i32 s0, s0, -1
	s_delay_alu instid0(SALU_CYCLE_1)
	s_cmp_lg_u32 s0, 0
	s_cbranch_scc1 .LBB122_1
; %bb.2:
	v_add_co_u32 v0, vcc_lo, s2, v0
	v_add_co_ci_u32_e32 v1, vcc_lo, s3, v1, vcc_lo
	s_waitcnt lgkmcnt(0)
	global_store_b32 v[0:1], v2, off
	s_nop 0
	s_sendmsg sendmsg(MSG_DEALLOC_VGPRS)
	s_endpgm
	.section	.rodata,"a",@progbits
	.p2align	6, 0x0
	.amdhsa_kernel _Z6kernelI9broadcastiLj16ELj100EEvPKT0_PS1_S1_
		.amdhsa_group_segment_fixed_size 0
		.amdhsa_private_segment_fixed_size 0
		.amdhsa_kernarg_size 280
		.amdhsa_user_sgpr_count 15
		.amdhsa_user_sgpr_dispatch_ptr 0
		.amdhsa_user_sgpr_queue_ptr 0
		.amdhsa_user_sgpr_kernarg_segment_ptr 1
		.amdhsa_user_sgpr_dispatch_id 0
		.amdhsa_user_sgpr_private_segment_size 0
		.amdhsa_wavefront_size32 1
		.amdhsa_uses_dynamic_stack 0
		.amdhsa_enable_private_segment 0
		.amdhsa_system_sgpr_workgroup_id_x 1
		.amdhsa_system_sgpr_workgroup_id_y 0
		.amdhsa_system_sgpr_workgroup_id_z 0
		.amdhsa_system_sgpr_workgroup_info 0
		.amdhsa_system_vgpr_workitem_id 0
		.amdhsa_next_free_vgpr 6
		.amdhsa_next_free_sgpr 16
		.amdhsa_reserve_vcc 1
		.amdhsa_float_round_mode_32 0
		.amdhsa_float_round_mode_16_64 0
		.amdhsa_float_denorm_mode_32 3
		.amdhsa_float_denorm_mode_16_64 3
		.amdhsa_dx10_clamp 1
		.amdhsa_ieee_mode 1
		.amdhsa_fp16_overflow 0
		.amdhsa_workgroup_processor_mode 1
		.amdhsa_memory_ordered 1
		.amdhsa_forward_progress 0
		.amdhsa_shared_vgpr_count 0
		.amdhsa_exception_fp_ieee_invalid_op 0
		.amdhsa_exception_fp_denorm_src 0
		.amdhsa_exception_fp_ieee_div_zero 0
		.amdhsa_exception_fp_ieee_overflow 0
		.amdhsa_exception_fp_ieee_underflow 0
		.amdhsa_exception_fp_ieee_inexact 0
		.amdhsa_exception_int_div_zero 0
	.end_amdhsa_kernel
	.section	.text._Z6kernelI9broadcastiLj16ELj100EEvPKT0_PS1_S1_,"axG",@progbits,_Z6kernelI9broadcastiLj16ELj100EEvPKT0_PS1_S1_,comdat
.Lfunc_end122:
	.size	_Z6kernelI9broadcastiLj16ELj100EEvPKT0_PS1_S1_, .Lfunc_end122-_Z6kernelI9broadcastiLj16ELj100EEvPKT0_PS1_S1_
                                        ; -- End function
	.section	.AMDGPU.csdata,"",@progbits
; Kernel info:
; codeLenInByte = 184
; NumSgprs: 18
; NumVgprs: 6
; ScratchSize: 0
; MemoryBound: 0
; FloatMode: 240
; IeeeMode: 1
; LDSByteSize: 0 bytes/workgroup (compile time only)
; SGPRBlocks: 2
; VGPRBlocks: 0
; NumSGPRsForWavesPerEU: 18
; NumVGPRsForWavesPerEU: 6
; Occupancy: 16
; WaveLimiterHint : 0
; COMPUTE_PGM_RSRC2:SCRATCH_EN: 0
; COMPUTE_PGM_RSRC2:USER_SGPR: 15
; COMPUTE_PGM_RSRC2:TRAP_HANDLER: 0
; COMPUTE_PGM_RSRC2:TGID_X_EN: 1
; COMPUTE_PGM_RSRC2:TGID_Y_EN: 0
; COMPUTE_PGM_RSRC2:TGID_Z_EN: 0
; COMPUTE_PGM_RSRC2:TIDIG_COMP_CNT: 0
	.section	.text._Z6kernelI9broadcastfLj64ELj100EEvPKT0_PS1_S1_,"axG",@progbits,_Z6kernelI9broadcastfLj64ELj100EEvPKT0_PS1_S1_,comdat
	.protected	_Z6kernelI9broadcastfLj64ELj100EEvPKT0_PS1_S1_ ; -- Begin function _Z6kernelI9broadcastfLj64ELj100EEvPKT0_PS1_S1_
	.globl	_Z6kernelI9broadcastfLj64ELj100EEvPKT0_PS1_S1_
	.p2align	8
	.type	_Z6kernelI9broadcastfLj64ELj100EEvPKT0_PS1_S1_,@function
_Z6kernelI9broadcastfLj64ELj100EEvPKT0_PS1_S1_: ; @_Z6kernelI9broadcastfLj64ELj100EEvPKT0_PS1_S1_
; %bb.0:
	s_clause 0x1
	s_load_b32 s4, s[0:1], 0x24
	s_load_b128 s[0:3], s[0:1], 0x0
	s_waitcnt lgkmcnt(0)
	s_and_b32 s4, s4, 0xffff
	s_delay_alu instid0(SALU_CYCLE_1) | instskip(SKIP_1) | instid1(VALU_DEP_1)
	v_mad_u64_u32 v[1:2], null, s15, s4, v[0:1]
	v_mov_b32_e32 v2, 0
	v_lshlrev_b64 v[0:1], 2, v[1:2]
	s_delay_alu instid0(VALU_DEP_1) | instskip(NEXT) | instid1(VALU_DEP_2)
	v_add_co_u32 v2, vcc_lo, s0, v0
	v_add_co_ci_u32_e32 v3, vcc_lo, s1, v1, vcc_lo
	s_movk_i32 s0, 0x65
	global_load_b32 v3, v[2:3], off
.LBB123_1:                              ; =>This Inner Loop Header: Depth=1
	s_waitcnt vmcnt(0)
	v_dual_mov_b32 v2, v3 :: v_dual_mov_b32 v3, 0
	s_add_i32 s0, s0, -1
	s_delay_alu instid0(SALU_CYCLE_1)
	s_cmp_lg_u32 s0, 0
	s_cbranch_scc1 .LBB123_1
; %bb.2:
	v_add_co_u32 v0, vcc_lo, s2, v0
	v_add_co_ci_u32_e32 v1, vcc_lo, s3, v1, vcc_lo
	global_store_b32 v[0:1], v2, off
	s_nop 0
	s_sendmsg sendmsg(MSG_DEALLOC_VGPRS)
	s_endpgm
	.section	.rodata,"a",@progbits
	.p2align	6, 0x0
	.amdhsa_kernel _Z6kernelI9broadcastfLj64ELj100EEvPKT0_PS1_S1_
		.amdhsa_group_segment_fixed_size 0
		.amdhsa_private_segment_fixed_size 0
		.amdhsa_kernarg_size 280
		.amdhsa_user_sgpr_count 15
		.amdhsa_user_sgpr_dispatch_ptr 0
		.amdhsa_user_sgpr_queue_ptr 0
		.amdhsa_user_sgpr_kernarg_segment_ptr 1
		.amdhsa_user_sgpr_dispatch_id 0
		.amdhsa_user_sgpr_private_segment_size 0
		.amdhsa_wavefront_size32 1
		.amdhsa_uses_dynamic_stack 0
		.amdhsa_enable_private_segment 0
		.amdhsa_system_sgpr_workgroup_id_x 1
		.amdhsa_system_sgpr_workgroup_id_y 0
		.amdhsa_system_sgpr_workgroup_id_z 0
		.amdhsa_system_sgpr_workgroup_info 0
		.amdhsa_system_vgpr_workitem_id 0
		.amdhsa_next_free_vgpr 4
		.amdhsa_next_free_sgpr 16
		.amdhsa_reserve_vcc 1
		.amdhsa_float_round_mode_32 0
		.amdhsa_float_round_mode_16_64 0
		.amdhsa_float_denorm_mode_32 3
		.amdhsa_float_denorm_mode_16_64 3
		.amdhsa_dx10_clamp 1
		.amdhsa_ieee_mode 1
		.amdhsa_fp16_overflow 0
		.amdhsa_workgroup_processor_mode 1
		.amdhsa_memory_ordered 1
		.amdhsa_forward_progress 0
		.amdhsa_shared_vgpr_count 0
		.amdhsa_exception_fp_ieee_invalid_op 0
		.amdhsa_exception_fp_denorm_src 0
		.amdhsa_exception_fp_ieee_div_zero 0
		.amdhsa_exception_fp_ieee_overflow 0
		.amdhsa_exception_fp_ieee_underflow 0
		.amdhsa_exception_fp_ieee_inexact 0
		.amdhsa_exception_int_div_zero 0
	.end_amdhsa_kernel
	.section	.text._Z6kernelI9broadcastfLj64ELj100EEvPKT0_PS1_S1_,"axG",@progbits,_Z6kernelI9broadcastfLj64ELj100EEvPKT0_PS1_S1_,comdat
.Lfunc_end123:
	.size	_Z6kernelI9broadcastfLj64ELj100EEvPKT0_PS1_S1_, .Lfunc_end123-_Z6kernelI9broadcastfLj64ELj100EEvPKT0_PS1_S1_
                                        ; -- End function
	.section	.AMDGPU.csdata,"",@progbits
; Kernel info:
; codeLenInByte = 144
; NumSgprs: 18
; NumVgprs: 4
; ScratchSize: 0
; MemoryBound: 0
; FloatMode: 240
; IeeeMode: 1
; LDSByteSize: 0 bytes/workgroup (compile time only)
; SGPRBlocks: 2
; VGPRBlocks: 0
; NumSGPRsForWavesPerEU: 18
; NumVGPRsForWavesPerEU: 4
; Occupancy: 16
; WaveLimiterHint : 0
; COMPUTE_PGM_RSRC2:SCRATCH_EN: 0
; COMPUTE_PGM_RSRC2:USER_SGPR: 15
; COMPUTE_PGM_RSRC2:TRAP_HANDLER: 0
; COMPUTE_PGM_RSRC2:TGID_X_EN: 1
; COMPUTE_PGM_RSRC2:TGID_Y_EN: 0
; COMPUTE_PGM_RSRC2:TGID_Z_EN: 0
; COMPUTE_PGM_RSRC2:TIDIG_COMP_CNT: 0
	.section	.text._Z6kernelI9broadcastfLj32ELj100EEvPKT0_PS1_S1_,"axG",@progbits,_Z6kernelI9broadcastfLj32ELj100EEvPKT0_PS1_S1_,comdat
	.protected	_Z6kernelI9broadcastfLj32ELj100EEvPKT0_PS1_S1_ ; -- Begin function _Z6kernelI9broadcastfLj32ELj100EEvPKT0_PS1_S1_
	.globl	_Z6kernelI9broadcastfLj32ELj100EEvPKT0_PS1_S1_
	.p2align	8
	.type	_Z6kernelI9broadcastfLj32ELj100EEvPKT0_PS1_S1_,@function
_Z6kernelI9broadcastfLj32ELj100EEvPKT0_PS1_S1_: ; @_Z6kernelI9broadcastfLj32ELj100EEvPKT0_PS1_S1_
; %bb.0:
	s_clause 0x1
	s_load_b32 s4, s[0:1], 0x24
	s_load_b128 s[0:3], s[0:1], 0x0
	s_waitcnt lgkmcnt(0)
	s_and_b32 s4, s4, 0xffff
	s_delay_alu instid0(SALU_CYCLE_1) | instskip(SKIP_1) | instid1(VALU_DEP_1)
	v_mad_u64_u32 v[2:3], null, s15, s4, v[0:1]
	v_mov_b32_e32 v3, 0
	v_lshlrev_b64 v[0:1], 2, v[2:3]
	v_bfe_u32 v2, v2, 5, 5
	s_delay_alu instid0(VALU_DEP_2) | instskip(NEXT) | instid1(VALU_DEP_3)
	v_add_co_u32 v3, vcc_lo, s0, v0
	v_add_co_ci_u32_e32 v4, vcc_lo, s1, v1, vcc_lo
	s_movk_i32 s0, 0x64
	global_load_b32 v3, v[3:4], off
.LBB124_1:                              ; =>This Inner Loop Header: Depth=1
	v_readfirstlane_b32 s1, v2
	s_add_i32 s0, s0, -1
	s_delay_alu instid0(SALU_CYCLE_1) | instskip(SKIP_1) | instid1(VALU_DEP_1)
	s_cmp_lg_u32 s0, 0
	s_waitcnt vmcnt(0)
	v_readlane_b32 s1, v3, s1
	s_delay_alu instid0(VALU_DEP_1)
	v_mov_b32_e32 v3, s1
	s_cbranch_scc1 .LBB124_1
; %bb.2:
	v_add_co_u32 v0, vcc_lo, s2, v0
	v_add_co_ci_u32_e32 v1, vcc_lo, s3, v1, vcc_lo
	v_mov_b32_e32 v2, s1
	global_store_b32 v[0:1], v2, off
	s_nop 0
	s_sendmsg sendmsg(MSG_DEALLOC_VGPRS)
	s_endpgm
	.section	.rodata,"a",@progbits
	.p2align	6, 0x0
	.amdhsa_kernel _Z6kernelI9broadcastfLj32ELj100EEvPKT0_PS1_S1_
		.amdhsa_group_segment_fixed_size 0
		.amdhsa_private_segment_fixed_size 0
		.amdhsa_kernarg_size 280
		.amdhsa_user_sgpr_count 15
		.amdhsa_user_sgpr_dispatch_ptr 0
		.amdhsa_user_sgpr_queue_ptr 0
		.amdhsa_user_sgpr_kernarg_segment_ptr 1
		.amdhsa_user_sgpr_dispatch_id 0
		.amdhsa_user_sgpr_private_segment_size 0
		.amdhsa_wavefront_size32 1
		.amdhsa_uses_dynamic_stack 0
		.amdhsa_enable_private_segment 0
		.amdhsa_system_sgpr_workgroup_id_x 1
		.amdhsa_system_sgpr_workgroup_id_y 0
		.amdhsa_system_sgpr_workgroup_id_z 0
		.amdhsa_system_sgpr_workgroup_info 0
		.amdhsa_system_vgpr_workitem_id 0
		.amdhsa_next_free_vgpr 5
		.amdhsa_next_free_sgpr 16
		.amdhsa_reserve_vcc 1
		.amdhsa_float_round_mode_32 0
		.amdhsa_float_round_mode_16_64 0
		.amdhsa_float_denorm_mode_32 3
		.amdhsa_float_denorm_mode_16_64 3
		.amdhsa_dx10_clamp 1
		.amdhsa_ieee_mode 1
		.amdhsa_fp16_overflow 0
		.amdhsa_workgroup_processor_mode 1
		.amdhsa_memory_ordered 1
		.amdhsa_forward_progress 0
		.amdhsa_shared_vgpr_count 0
		.amdhsa_exception_fp_ieee_invalid_op 0
		.amdhsa_exception_fp_denorm_src 0
		.amdhsa_exception_fp_ieee_div_zero 0
		.amdhsa_exception_fp_ieee_overflow 0
		.amdhsa_exception_fp_ieee_underflow 0
		.amdhsa_exception_fp_ieee_inexact 0
		.amdhsa_exception_int_div_zero 0
	.end_amdhsa_kernel
	.section	.text._Z6kernelI9broadcastfLj32ELj100EEvPKT0_PS1_S1_,"axG",@progbits,_Z6kernelI9broadcastfLj32ELj100EEvPKT0_PS1_S1_,comdat
.Lfunc_end124:
	.size	_Z6kernelI9broadcastfLj32ELj100EEvPKT0_PS1_S1_, .Lfunc_end124-_Z6kernelI9broadcastfLj32ELj100EEvPKT0_PS1_S1_
                                        ; -- End function
	.section	.AMDGPU.csdata,"",@progbits
; Kernel info:
; codeLenInByte = 168
; NumSgprs: 18
; NumVgprs: 5
; ScratchSize: 0
; MemoryBound: 0
; FloatMode: 240
; IeeeMode: 1
; LDSByteSize: 0 bytes/workgroup (compile time only)
; SGPRBlocks: 2
; VGPRBlocks: 0
; NumSGPRsForWavesPerEU: 18
; NumVGPRsForWavesPerEU: 5
; Occupancy: 16
; WaveLimiterHint : 0
; COMPUTE_PGM_RSRC2:SCRATCH_EN: 0
; COMPUTE_PGM_RSRC2:USER_SGPR: 15
; COMPUTE_PGM_RSRC2:TRAP_HANDLER: 0
; COMPUTE_PGM_RSRC2:TGID_X_EN: 1
; COMPUTE_PGM_RSRC2:TGID_Y_EN: 0
; COMPUTE_PGM_RSRC2:TGID_Z_EN: 0
; COMPUTE_PGM_RSRC2:TIDIG_COMP_CNT: 0
	.section	.text._Z6kernelI9broadcastfLj16ELj100EEvPKT0_PS1_S1_,"axG",@progbits,_Z6kernelI9broadcastfLj16ELj100EEvPKT0_PS1_S1_,comdat
	.protected	_Z6kernelI9broadcastfLj16ELj100EEvPKT0_PS1_S1_ ; -- Begin function _Z6kernelI9broadcastfLj16ELj100EEvPKT0_PS1_S1_
	.globl	_Z6kernelI9broadcastfLj16ELj100EEvPKT0_PS1_S1_
	.p2align	8
	.type	_Z6kernelI9broadcastfLj16ELj100EEvPKT0_PS1_S1_,@function
_Z6kernelI9broadcastfLj16ELj100EEvPKT0_PS1_S1_: ; @_Z6kernelI9broadcastfLj16ELj100EEvPKT0_PS1_S1_
; %bb.0:
	s_clause 0x1
	s_load_b32 s4, s[0:1], 0x24
	s_load_b128 s[0:3], s[0:1], 0x0
	s_waitcnt lgkmcnt(0)
	s_and_b32 s4, s4, 0xffff
	s_delay_alu instid0(SALU_CYCLE_1) | instskip(SKIP_1) | instid1(VALU_DEP_1)
	v_mad_u64_u32 v[3:4], null, s15, s4, v[0:1]
	v_mov_b32_e32 v4, 0
	v_lshlrev_b64 v[0:1], 2, v[3:4]
	v_lshrrev_b32_e32 v3, 4, v3
	s_delay_alu instid0(VALU_DEP_2) | instskip(NEXT) | instid1(VALU_DEP_3)
	v_add_co_u32 v4, vcc_lo, s0, v0
	v_add_co_ci_u32_e32 v5, vcc_lo, s1, v1, vcc_lo
	s_movk_i32 s0, 0x64
	global_load_b32 v2, v[4:5], off
	v_mbcnt_lo_u32_b32 v4, -1, 0
	s_delay_alu instid0(VALU_DEP_1) | instskip(NEXT) | instid1(VALU_DEP_1)
	v_and_b32_e32 v4, 16, v4
	v_and_or_b32 v3, v3, 15, v4
	s_delay_alu instid0(VALU_DEP_1)
	v_lshlrev_b32_e32 v3, 2, v3
.LBB125_1:                              ; =>This Inner Loop Header: Depth=1
	s_waitcnt vmcnt(0) lgkmcnt(0)
	ds_bpermute_b32 v2, v3, v2
	s_add_i32 s0, s0, -1
	s_delay_alu instid0(SALU_CYCLE_1)
	s_cmp_lg_u32 s0, 0
	s_cbranch_scc1 .LBB125_1
; %bb.2:
	v_add_co_u32 v0, vcc_lo, s2, v0
	v_add_co_ci_u32_e32 v1, vcc_lo, s3, v1, vcc_lo
	s_waitcnt lgkmcnt(0)
	global_store_b32 v[0:1], v2, off
	s_nop 0
	s_sendmsg sendmsg(MSG_DEALLOC_VGPRS)
	s_endpgm
	.section	.rodata,"a",@progbits
	.p2align	6, 0x0
	.amdhsa_kernel _Z6kernelI9broadcastfLj16ELj100EEvPKT0_PS1_S1_
		.amdhsa_group_segment_fixed_size 0
		.amdhsa_private_segment_fixed_size 0
		.amdhsa_kernarg_size 280
		.amdhsa_user_sgpr_count 15
		.amdhsa_user_sgpr_dispatch_ptr 0
		.amdhsa_user_sgpr_queue_ptr 0
		.amdhsa_user_sgpr_kernarg_segment_ptr 1
		.amdhsa_user_sgpr_dispatch_id 0
		.amdhsa_user_sgpr_private_segment_size 0
		.amdhsa_wavefront_size32 1
		.amdhsa_uses_dynamic_stack 0
		.amdhsa_enable_private_segment 0
		.amdhsa_system_sgpr_workgroup_id_x 1
		.amdhsa_system_sgpr_workgroup_id_y 0
		.amdhsa_system_sgpr_workgroup_id_z 0
		.amdhsa_system_sgpr_workgroup_info 0
		.amdhsa_system_vgpr_workitem_id 0
		.amdhsa_next_free_vgpr 6
		.amdhsa_next_free_sgpr 16
		.amdhsa_reserve_vcc 1
		.amdhsa_float_round_mode_32 0
		.amdhsa_float_round_mode_16_64 0
		.amdhsa_float_denorm_mode_32 3
		.amdhsa_float_denorm_mode_16_64 3
		.amdhsa_dx10_clamp 1
		.amdhsa_ieee_mode 1
		.amdhsa_fp16_overflow 0
		.amdhsa_workgroup_processor_mode 1
		.amdhsa_memory_ordered 1
		.amdhsa_forward_progress 0
		.amdhsa_shared_vgpr_count 0
		.amdhsa_exception_fp_ieee_invalid_op 0
		.amdhsa_exception_fp_denorm_src 0
		.amdhsa_exception_fp_ieee_div_zero 0
		.amdhsa_exception_fp_ieee_overflow 0
		.amdhsa_exception_fp_ieee_underflow 0
		.amdhsa_exception_fp_ieee_inexact 0
		.amdhsa_exception_int_div_zero 0
	.end_amdhsa_kernel
	.section	.text._Z6kernelI9broadcastfLj16ELj100EEvPKT0_PS1_S1_,"axG",@progbits,_Z6kernelI9broadcastfLj16ELj100EEvPKT0_PS1_S1_,comdat
.Lfunc_end125:
	.size	_Z6kernelI9broadcastfLj16ELj100EEvPKT0_PS1_S1_, .Lfunc_end125-_Z6kernelI9broadcastfLj16ELj100EEvPKT0_PS1_S1_
                                        ; -- End function
	.section	.AMDGPU.csdata,"",@progbits
; Kernel info:
; codeLenInByte = 184
; NumSgprs: 18
; NumVgprs: 6
; ScratchSize: 0
; MemoryBound: 0
; FloatMode: 240
; IeeeMode: 1
; LDSByteSize: 0 bytes/workgroup (compile time only)
; SGPRBlocks: 2
; VGPRBlocks: 0
; NumSGPRsForWavesPerEU: 18
; NumVGPRsForWavesPerEU: 6
; Occupancy: 16
; WaveLimiterHint : 0
; COMPUTE_PGM_RSRC2:SCRATCH_EN: 0
; COMPUTE_PGM_RSRC2:USER_SGPR: 15
; COMPUTE_PGM_RSRC2:TRAP_HANDLER: 0
; COMPUTE_PGM_RSRC2:TGID_X_EN: 1
; COMPUTE_PGM_RSRC2:TGID_Y_EN: 0
; COMPUTE_PGM_RSRC2:TGID_Z_EN: 0
; COMPUTE_PGM_RSRC2:TIDIG_COMP_CNT: 0
	.section	.text._Z6kernelI9broadcastdLj64ELj100EEvPKT0_PS1_S1_,"axG",@progbits,_Z6kernelI9broadcastdLj64ELj100EEvPKT0_PS1_S1_,comdat
	.protected	_Z6kernelI9broadcastdLj64ELj100EEvPKT0_PS1_S1_ ; -- Begin function _Z6kernelI9broadcastdLj64ELj100EEvPKT0_PS1_S1_
	.globl	_Z6kernelI9broadcastdLj64ELj100EEvPKT0_PS1_S1_
	.p2align	8
	.type	_Z6kernelI9broadcastdLj64ELj100EEvPKT0_PS1_S1_,@function
_Z6kernelI9broadcastdLj64ELj100EEvPKT0_PS1_S1_: ; @_Z6kernelI9broadcastdLj64ELj100EEvPKT0_PS1_S1_
; %bb.0:
	s_clause 0x1
	s_load_b32 s4, s[0:1], 0x24
	s_load_b128 s[0:3], s[0:1], 0x0
	s_waitcnt lgkmcnt(0)
	s_and_b32 s4, s4, 0xffff
	s_delay_alu instid0(SALU_CYCLE_1) | instskip(SKIP_1) | instid1(VALU_DEP_1)
	v_mad_u64_u32 v[1:2], null, s15, s4, v[0:1]
	v_mov_b32_e32 v2, 0
	v_lshlrev_b64 v[0:1], 3, v[1:2]
	s_delay_alu instid0(VALU_DEP_1) | instskip(NEXT) | instid1(VALU_DEP_2)
	v_add_co_u32 v2, vcc_lo, s0, v0
	v_add_co_ci_u32_e32 v3, vcc_lo, s1, v1, vcc_lo
	s_movk_i32 s0, 0x65
	global_load_b64 v[4:5], v[2:3], off
.LBB126_1:                              ; =>This Inner Loop Header: Depth=1
	s_waitcnt vmcnt(0)
	v_dual_mov_b32 v2, v4 :: v_dual_mov_b32 v3, v5
	v_mov_b32_e32 v4, 0
	v_mov_b32_e32 v5, 0
	s_add_i32 s0, s0, -1
	s_delay_alu instid0(SALU_CYCLE_1)
	s_cmp_lg_u32 s0, 0
	s_cbranch_scc1 .LBB126_1
; %bb.2:
	v_add_co_u32 v0, vcc_lo, s2, v0
	v_add_co_ci_u32_e32 v1, vcc_lo, s3, v1, vcc_lo
	global_store_b64 v[0:1], v[2:3], off
	s_nop 0
	s_sendmsg sendmsg(MSG_DEALLOC_VGPRS)
	s_endpgm
	.section	.rodata,"a",@progbits
	.p2align	6, 0x0
	.amdhsa_kernel _Z6kernelI9broadcastdLj64ELj100EEvPKT0_PS1_S1_
		.amdhsa_group_segment_fixed_size 0
		.amdhsa_private_segment_fixed_size 0
		.amdhsa_kernarg_size 280
		.amdhsa_user_sgpr_count 15
		.amdhsa_user_sgpr_dispatch_ptr 0
		.amdhsa_user_sgpr_queue_ptr 0
		.amdhsa_user_sgpr_kernarg_segment_ptr 1
		.amdhsa_user_sgpr_dispatch_id 0
		.amdhsa_user_sgpr_private_segment_size 0
		.amdhsa_wavefront_size32 1
		.amdhsa_uses_dynamic_stack 0
		.amdhsa_enable_private_segment 0
		.amdhsa_system_sgpr_workgroup_id_x 1
		.amdhsa_system_sgpr_workgroup_id_y 0
		.amdhsa_system_sgpr_workgroup_id_z 0
		.amdhsa_system_sgpr_workgroup_info 0
		.amdhsa_system_vgpr_workitem_id 0
		.amdhsa_next_free_vgpr 6
		.amdhsa_next_free_sgpr 16
		.amdhsa_reserve_vcc 1
		.amdhsa_float_round_mode_32 0
		.amdhsa_float_round_mode_16_64 0
		.amdhsa_float_denorm_mode_32 3
		.amdhsa_float_denorm_mode_16_64 3
		.amdhsa_dx10_clamp 1
		.amdhsa_ieee_mode 1
		.amdhsa_fp16_overflow 0
		.amdhsa_workgroup_processor_mode 1
		.amdhsa_memory_ordered 1
		.amdhsa_forward_progress 0
		.amdhsa_shared_vgpr_count 0
		.amdhsa_exception_fp_ieee_invalid_op 0
		.amdhsa_exception_fp_denorm_src 0
		.amdhsa_exception_fp_ieee_div_zero 0
		.amdhsa_exception_fp_ieee_overflow 0
		.amdhsa_exception_fp_ieee_underflow 0
		.amdhsa_exception_fp_ieee_inexact 0
		.amdhsa_exception_int_div_zero 0
	.end_amdhsa_kernel
	.section	.text._Z6kernelI9broadcastdLj64ELj100EEvPKT0_PS1_S1_,"axG",@progbits,_Z6kernelI9broadcastdLj64ELj100EEvPKT0_PS1_S1_,comdat
.Lfunc_end126:
	.size	_Z6kernelI9broadcastdLj64ELj100EEvPKT0_PS1_S1_, .Lfunc_end126-_Z6kernelI9broadcastdLj64ELj100EEvPKT0_PS1_S1_
                                        ; -- End function
	.section	.AMDGPU.csdata,"",@progbits
; Kernel info:
; codeLenInByte = 152
; NumSgprs: 18
; NumVgprs: 6
; ScratchSize: 0
; MemoryBound: 0
; FloatMode: 240
; IeeeMode: 1
; LDSByteSize: 0 bytes/workgroup (compile time only)
; SGPRBlocks: 2
; VGPRBlocks: 0
; NumSGPRsForWavesPerEU: 18
; NumVGPRsForWavesPerEU: 6
; Occupancy: 16
; WaveLimiterHint : 0
; COMPUTE_PGM_RSRC2:SCRATCH_EN: 0
; COMPUTE_PGM_RSRC2:USER_SGPR: 15
; COMPUTE_PGM_RSRC2:TRAP_HANDLER: 0
; COMPUTE_PGM_RSRC2:TGID_X_EN: 1
; COMPUTE_PGM_RSRC2:TGID_Y_EN: 0
; COMPUTE_PGM_RSRC2:TGID_Z_EN: 0
; COMPUTE_PGM_RSRC2:TIDIG_COMP_CNT: 0
	.section	.text._Z6kernelI9broadcastdLj32ELj100EEvPKT0_PS1_S1_,"axG",@progbits,_Z6kernelI9broadcastdLj32ELj100EEvPKT0_PS1_S1_,comdat
	.protected	_Z6kernelI9broadcastdLj32ELj100EEvPKT0_PS1_S1_ ; -- Begin function _Z6kernelI9broadcastdLj32ELj100EEvPKT0_PS1_S1_
	.globl	_Z6kernelI9broadcastdLj32ELj100EEvPKT0_PS1_S1_
	.p2align	8
	.type	_Z6kernelI9broadcastdLj32ELj100EEvPKT0_PS1_S1_,@function
_Z6kernelI9broadcastdLj32ELj100EEvPKT0_PS1_S1_: ; @_Z6kernelI9broadcastdLj32ELj100EEvPKT0_PS1_S1_
; %bb.0:
	s_clause 0x1
	s_load_b32 s4, s[0:1], 0x24
	s_load_b128 s[0:3], s[0:1], 0x0
	s_waitcnt lgkmcnt(0)
	s_and_b32 s4, s4, 0xffff
	s_delay_alu instid0(SALU_CYCLE_1) | instskip(SKIP_2) | instid1(VALU_DEP_1)
	v_mad_u64_u32 v[4:5], null, s15, s4, v[0:1]
	v_mov_b32_e32 v5, 0
	s_movk_i32 s4, 0x64
	v_lshlrev_b64 v[0:1], 3, v[4:5]
	v_bfe_u32 v4, v4, 5, 5
	s_delay_alu instid0(VALU_DEP_2) | instskip(NEXT) | instid1(VALU_DEP_3)
	v_add_co_u32 v2, vcc_lo, s0, v0
	v_add_co_ci_u32_e32 v3, vcc_lo, s1, v1, vcc_lo
	global_load_b64 v[2:3], v[2:3], off
.LBB127_1:                              ; =>This Inner Loop Header: Depth=1
	v_readfirstlane_b32 s1, v4
	s_add_i32 s4, s4, -1
	s_delay_alu instid0(SALU_CYCLE_1) | instskip(SKIP_1) | instid1(VALU_DEP_1)
	s_cmp_lg_u32 s4, 0
	s_waitcnt vmcnt(0)
	v_readlane_b32 s0, v2, s1
	v_readlane_b32 s1, v3, s1
	s_delay_alu instid0(VALU_DEP_1)
	v_dual_mov_b32 v3, s1 :: v_dual_mov_b32 v2, s0
	s_cbranch_scc1 .LBB127_1
; %bb.2:
	v_add_co_u32 v0, vcc_lo, s2, v0
	v_add_co_ci_u32_e32 v1, vcc_lo, s3, v1, vcc_lo
	v_dual_mov_b32 v3, s1 :: v_dual_mov_b32 v2, s0
	global_store_b64 v[0:1], v[2:3], off
	s_nop 0
	s_sendmsg sendmsg(MSG_DEALLOC_VGPRS)
	s_endpgm
	.section	.rodata,"a",@progbits
	.p2align	6, 0x0
	.amdhsa_kernel _Z6kernelI9broadcastdLj32ELj100EEvPKT0_PS1_S1_
		.amdhsa_group_segment_fixed_size 0
		.amdhsa_private_segment_fixed_size 0
		.amdhsa_kernarg_size 280
		.amdhsa_user_sgpr_count 15
		.amdhsa_user_sgpr_dispatch_ptr 0
		.amdhsa_user_sgpr_queue_ptr 0
		.amdhsa_user_sgpr_kernarg_segment_ptr 1
		.amdhsa_user_sgpr_dispatch_id 0
		.amdhsa_user_sgpr_private_segment_size 0
		.amdhsa_wavefront_size32 1
		.amdhsa_uses_dynamic_stack 0
		.amdhsa_enable_private_segment 0
		.amdhsa_system_sgpr_workgroup_id_x 1
		.amdhsa_system_sgpr_workgroup_id_y 0
		.amdhsa_system_sgpr_workgroup_id_z 0
		.amdhsa_system_sgpr_workgroup_info 0
		.amdhsa_system_vgpr_workitem_id 0
		.amdhsa_next_free_vgpr 6
		.amdhsa_next_free_sgpr 16
		.amdhsa_reserve_vcc 1
		.amdhsa_float_round_mode_32 0
		.amdhsa_float_round_mode_16_64 0
		.amdhsa_float_denorm_mode_32 3
		.amdhsa_float_denorm_mode_16_64 3
		.amdhsa_dx10_clamp 1
		.amdhsa_ieee_mode 1
		.amdhsa_fp16_overflow 0
		.amdhsa_workgroup_processor_mode 1
		.amdhsa_memory_ordered 1
		.amdhsa_forward_progress 0
		.amdhsa_shared_vgpr_count 0
		.amdhsa_exception_fp_ieee_invalid_op 0
		.amdhsa_exception_fp_denorm_src 0
		.amdhsa_exception_fp_ieee_div_zero 0
		.amdhsa_exception_fp_ieee_overflow 0
		.amdhsa_exception_fp_ieee_underflow 0
		.amdhsa_exception_fp_ieee_inexact 0
		.amdhsa_exception_int_div_zero 0
	.end_amdhsa_kernel
	.section	.text._Z6kernelI9broadcastdLj32ELj100EEvPKT0_PS1_S1_,"axG",@progbits,_Z6kernelI9broadcastdLj32ELj100EEvPKT0_PS1_S1_,comdat
.Lfunc_end127:
	.size	_Z6kernelI9broadcastdLj32ELj100EEvPKT0_PS1_S1_, .Lfunc_end127-_Z6kernelI9broadcastdLj32ELj100EEvPKT0_PS1_S1_
                                        ; -- End function
	.section	.AMDGPU.csdata,"",@progbits
; Kernel info:
; codeLenInByte = 184
; NumSgprs: 18
; NumVgprs: 6
; ScratchSize: 0
; MemoryBound: 0
; FloatMode: 240
; IeeeMode: 1
; LDSByteSize: 0 bytes/workgroup (compile time only)
; SGPRBlocks: 2
; VGPRBlocks: 0
; NumSGPRsForWavesPerEU: 18
; NumVGPRsForWavesPerEU: 6
; Occupancy: 16
; WaveLimiterHint : 0
; COMPUTE_PGM_RSRC2:SCRATCH_EN: 0
; COMPUTE_PGM_RSRC2:USER_SGPR: 15
; COMPUTE_PGM_RSRC2:TRAP_HANDLER: 0
; COMPUTE_PGM_RSRC2:TGID_X_EN: 1
; COMPUTE_PGM_RSRC2:TGID_Y_EN: 0
; COMPUTE_PGM_RSRC2:TGID_Z_EN: 0
; COMPUTE_PGM_RSRC2:TIDIG_COMP_CNT: 0
	.section	.text._Z6kernelI9broadcastdLj16ELj100EEvPKT0_PS1_S1_,"axG",@progbits,_Z6kernelI9broadcastdLj16ELj100EEvPKT0_PS1_S1_,comdat
	.protected	_Z6kernelI9broadcastdLj16ELj100EEvPKT0_PS1_S1_ ; -- Begin function _Z6kernelI9broadcastdLj16ELj100EEvPKT0_PS1_S1_
	.globl	_Z6kernelI9broadcastdLj16ELj100EEvPKT0_PS1_S1_
	.p2align	8
	.type	_Z6kernelI9broadcastdLj16ELj100EEvPKT0_PS1_S1_,@function
_Z6kernelI9broadcastdLj16ELj100EEvPKT0_PS1_S1_: ; @_Z6kernelI9broadcastdLj16ELj100EEvPKT0_PS1_S1_
; %bb.0:
	s_clause 0x1
	s_load_b32 s4, s[0:1], 0x24
	s_load_b128 s[0:3], s[0:1], 0x0
	s_waitcnt lgkmcnt(0)
	s_and_b32 s4, s4, 0xffff
	s_delay_alu instid0(SALU_CYCLE_1) | instskip(SKIP_1) | instid1(VALU_DEP_1)
	v_mad_u64_u32 v[4:5], null, s15, s4, v[0:1]
	v_mov_b32_e32 v5, 0
	v_lshlrev_b64 v[0:1], 3, v[4:5]
	v_mbcnt_lo_u32_b32 v5, -1, 0
	v_lshrrev_b32_e32 v4, 4, v4
	s_delay_alu instid0(VALU_DEP_2) | instskip(NEXT) | instid1(VALU_DEP_4)
	v_and_b32_e32 v5, 16, v5
	v_add_co_u32 v2, vcc_lo, s0, v0
	v_add_co_ci_u32_e32 v3, vcc_lo, s1, v1, vcc_lo
	s_delay_alu instid0(VALU_DEP_3)
	v_and_or_b32 v4, v4, 15, v5
	s_movk_i32 s0, 0x64
	global_load_b64 v[2:3], v[2:3], off
	v_lshlrev_b32_e32 v4, 2, v4
.LBB128_1:                              ; =>This Inner Loop Header: Depth=1
	s_waitcnt vmcnt(0) lgkmcnt(1)
	ds_bpermute_b32 v2, v4, v2
	s_waitcnt lgkmcnt(1)
	ds_bpermute_b32 v3, v4, v3
	s_add_i32 s0, s0, -1
	s_delay_alu instid0(SALU_CYCLE_1)
	s_cmp_lg_u32 s0, 0
	s_cbranch_scc1 .LBB128_1
; %bb.2:
	v_add_co_u32 v0, vcc_lo, s2, v0
	v_add_co_ci_u32_e32 v1, vcc_lo, s3, v1, vcc_lo
	s_waitcnt lgkmcnt(0)
	global_store_b64 v[0:1], v[2:3], off
	s_nop 0
	s_sendmsg sendmsg(MSG_DEALLOC_VGPRS)
	s_endpgm
	.section	.rodata,"a",@progbits
	.p2align	6, 0x0
	.amdhsa_kernel _Z6kernelI9broadcastdLj16ELj100EEvPKT0_PS1_S1_
		.amdhsa_group_segment_fixed_size 0
		.amdhsa_private_segment_fixed_size 0
		.amdhsa_kernarg_size 280
		.amdhsa_user_sgpr_count 15
		.amdhsa_user_sgpr_dispatch_ptr 0
		.amdhsa_user_sgpr_queue_ptr 0
		.amdhsa_user_sgpr_kernarg_segment_ptr 1
		.amdhsa_user_sgpr_dispatch_id 0
		.amdhsa_user_sgpr_private_segment_size 0
		.amdhsa_wavefront_size32 1
		.amdhsa_uses_dynamic_stack 0
		.amdhsa_enable_private_segment 0
		.amdhsa_system_sgpr_workgroup_id_x 1
		.amdhsa_system_sgpr_workgroup_id_y 0
		.amdhsa_system_sgpr_workgroup_id_z 0
		.amdhsa_system_sgpr_workgroup_info 0
		.amdhsa_system_vgpr_workitem_id 0
		.amdhsa_next_free_vgpr 6
		.amdhsa_next_free_sgpr 16
		.amdhsa_reserve_vcc 1
		.amdhsa_float_round_mode_32 0
		.amdhsa_float_round_mode_16_64 0
		.amdhsa_float_denorm_mode_32 3
		.amdhsa_float_denorm_mode_16_64 3
		.amdhsa_dx10_clamp 1
		.amdhsa_ieee_mode 1
		.amdhsa_fp16_overflow 0
		.amdhsa_workgroup_processor_mode 1
		.amdhsa_memory_ordered 1
		.amdhsa_forward_progress 0
		.amdhsa_shared_vgpr_count 0
		.amdhsa_exception_fp_ieee_invalid_op 0
		.amdhsa_exception_fp_denorm_src 0
		.amdhsa_exception_fp_ieee_div_zero 0
		.amdhsa_exception_fp_ieee_overflow 0
		.amdhsa_exception_fp_ieee_underflow 0
		.amdhsa_exception_fp_ieee_inexact 0
		.amdhsa_exception_int_div_zero 0
	.end_amdhsa_kernel
	.section	.text._Z6kernelI9broadcastdLj16ELj100EEvPKT0_PS1_S1_,"axG",@progbits,_Z6kernelI9broadcastdLj16ELj100EEvPKT0_PS1_S1_,comdat
.Lfunc_end128:
	.size	_Z6kernelI9broadcastdLj16ELj100EEvPKT0_PS1_S1_, .Lfunc_end128-_Z6kernelI9broadcastdLj16ELj100EEvPKT0_PS1_S1_
                                        ; -- End function
	.section	.AMDGPU.csdata,"",@progbits
; Kernel info:
; codeLenInByte = 192
; NumSgprs: 18
; NumVgprs: 6
; ScratchSize: 0
; MemoryBound: 0
; FloatMode: 240
; IeeeMode: 1
; LDSByteSize: 0 bytes/workgroup (compile time only)
; SGPRBlocks: 2
; VGPRBlocks: 0
; NumSGPRsForWavesPerEU: 18
; NumVGPRsForWavesPerEU: 6
; Occupancy: 16
; WaveLimiterHint : 0
; COMPUTE_PGM_RSRC2:SCRATCH_EN: 0
; COMPUTE_PGM_RSRC2:USER_SGPR: 15
; COMPUTE_PGM_RSRC2:TRAP_HANDLER: 0
; COMPUTE_PGM_RSRC2:TGID_X_EN: 1
; COMPUTE_PGM_RSRC2:TGID_Y_EN: 0
; COMPUTE_PGM_RSRC2:TGID_Z_EN: 0
; COMPUTE_PGM_RSRC2:TIDIG_COMP_CNT: 0
	.section	.text._Z6kernelI9broadcastaLj64ELj100EEvPKT0_PS1_S1_,"axG",@progbits,_Z6kernelI9broadcastaLj64ELj100EEvPKT0_PS1_S1_,comdat
	.protected	_Z6kernelI9broadcastaLj64ELj100EEvPKT0_PS1_S1_ ; -- Begin function _Z6kernelI9broadcastaLj64ELj100EEvPKT0_PS1_S1_
	.globl	_Z6kernelI9broadcastaLj64ELj100EEvPKT0_PS1_S1_
	.p2align	8
	.type	_Z6kernelI9broadcastaLj64ELj100EEvPKT0_PS1_S1_,@function
_Z6kernelI9broadcastaLj64ELj100EEvPKT0_PS1_S1_: ; @_Z6kernelI9broadcastaLj64ELj100EEvPKT0_PS1_S1_
; %bb.0:
	s_clause 0x1
	s_load_b32 s2, s[0:1], 0x24
	s_load_b64 s[0:1], s[0:1], 0x8
	s_waitcnt lgkmcnt(0)
	s_and_b32 s2, s2, 0xffff
	s_delay_alu instid0(SALU_CYCLE_1)
	v_mad_u64_u32 v[1:2], null, s15, s2, v[0:1]
	v_mov_b32_e32 v0, 0
	global_store_b8 v1, v0, s[0:1]
	s_nop 0
	s_sendmsg sendmsg(MSG_DEALLOC_VGPRS)
	s_endpgm
	.section	.rodata,"a",@progbits
	.p2align	6, 0x0
	.amdhsa_kernel _Z6kernelI9broadcastaLj64ELj100EEvPKT0_PS1_S1_
		.amdhsa_group_segment_fixed_size 0
		.amdhsa_private_segment_fixed_size 0
		.amdhsa_kernarg_size 280
		.amdhsa_user_sgpr_count 15
		.amdhsa_user_sgpr_dispatch_ptr 0
		.amdhsa_user_sgpr_queue_ptr 0
		.amdhsa_user_sgpr_kernarg_segment_ptr 1
		.amdhsa_user_sgpr_dispatch_id 0
		.amdhsa_user_sgpr_private_segment_size 0
		.amdhsa_wavefront_size32 1
		.amdhsa_uses_dynamic_stack 0
		.amdhsa_enable_private_segment 0
		.amdhsa_system_sgpr_workgroup_id_x 1
		.amdhsa_system_sgpr_workgroup_id_y 0
		.amdhsa_system_sgpr_workgroup_id_z 0
		.amdhsa_system_sgpr_workgroup_info 0
		.amdhsa_system_vgpr_workitem_id 0
		.amdhsa_next_free_vgpr 3
		.amdhsa_next_free_sgpr 16
		.amdhsa_reserve_vcc 0
		.amdhsa_float_round_mode_32 0
		.amdhsa_float_round_mode_16_64 0
		.amdhsa_float_denorm_mode_32 3
		.amdhsa_float_denorm_mode_16_64 3
		.amdhsa_dx10_clamp 1
		.amdhsa_ieee_mode 1
		.amdhsa_fp16_overflow 0
		.amdhsa_workgroup_processor_mode 1
		.amdhsa_memory_ordered 1
		.amdhsa_forward_progress 0
		.amdhsa_shared_vgpr_count 0
		.amdhsa_exception_fp_ieee_invalid_op 0
		.amdhsa_exception_fp_denorm_src 0
		.amdhsa_exception_fp_ieee_div_zero 0
		.amdhsa_exception_fp_ieee_overflow 0
		.amdhsa_exception_fp_ieee_underflow 0
		.amdhsa_exception_fp_ieee_inexact 0
		.amdhsa_exception_int_div_zero 0
	.end_amdhsa_kernel
	.section	.text._Z6kernelI9broadcastaLj64ELj100EEvPKT0_PS1_S1_,"axG",@progbits,_Z6kernelI9broadcastaLj64ELj100EEvPKT0_PS1_S1_,comdat
.Lfunc_end129:
	.size	_Z6kernelI9broadcastaLj64ELj100EEvPKT0_PS1_S1_, .Lfunc_end129-_Z6kernelI9broadcastaLj64ELj100EEvPKT0_PS1_S1_
                                        ; -- End function
	.section	.AMDGPU.csdata,"",@progbits
; Kernel info:
; codeLenInByte = 68
; NumSgprs: 16
; NumVgprs: 3
; ScratchSize: 0
; MemoryBound: 0
; FloatMode: 240
; IeeeMode: 1
; LDSByteSize: 0 bytes/workgroup (compile time only)
; SGPRBlocks: 1
; VGPRBlocks: 0
; NumSGPRsForWavesPerEU: 16
; NumVGPRsForWavesPerEU: 3
; Occupancy: 16
; WaveLimiterHint : 0
; COMPUTE_PGM_RSRC2:SCRATCH_EN: 0
; COMPUTE_PGM_RSRC2:USER_SGPR: 15
; COMPUTE_PGM_RSRC2:TRAP_HANDLER: 0
; COMPUTE_PGM_RSRC2:TGID_X_EN: 1
; COMPUTE_PGM_RSRC2:TGID_Y_EN: 0
; COMPUTE_PGM_RSRC2:TGID_Z_EN: 0
; COMPUTE_PGM_RSRC2:TIDIG_COMP_CNT: 0
	.section	.text._Z6kernelI9broadcastaLj32ELj100EEvPKT0_PS1_S1_,"axG",@progbits,_Z6kernelI9broadcastaLj32ELj100EEvPKT0_PS1_S1_,comdat
	.protected	_Z6kernelI9broadcastaLj32ELj100EEvPKT0_PS1_S1_ ; -- Begin function _Z6kernelI9broadcastaLj32ELj100EEvPKT0_PS1_S1_
	.globl	_Z6kernelI9broadcastaLj32ELj100EEvPKT0_PS1_S1_
	.p2align	8
	.type	_Z6kernelI9broadcastaLj32ELj100EEvPKT0_PS1_S1_,@function
_Z6kernelI9broadcastaLj32ELj100EEvPKT0_PS1_S1_: ; @_Z6kernelI9broadcastaLj32ELj100EEvPKT0_PS1_S1_
; %bb.0:
	s_clause 0x1
	s_load_b32 s4, s[0:1], 0x24
	s_load_b128 s[0:3], s[0:1], 0x0
	s_waitcnt lgkmcnt(0)
	s_and_b32 s4, s4, 0xffff
	s_delay_alu instid0(SALU_CYCLE_1)
	v_mad_u64_u32 v[1:2], null, s15, s4, v[0:1]
	global_load_u8 v2, v1, s[0:1]
	v_bfe_u32 v0, v1, 5, 5
	s_movk_i32 s0, 0x64
.LBB130_1:                              ; =>This Inner Loop Header: Depth=1
	s_delay_alu instid0(VALU_DEP_1) | instskip(SKIP_1) | instid1(VALU_DEP_2)
	v_readfirstlane_b32 s1, v0
	s_waitcnt vmcnt(0)
	v_and_b32_e32 v2, 0xff, v2
	s_add_i32 s0, s0, -1
	s_delay_alu instid0(SALU_CYCLE_1) | instskip(NEXT) | instid1(VALU_DEP_1)
	s_cmp_lg_u32 s0, 0
	v_readlane_b32 s1, v2, s1
	s_delay_alu instid0(VALU_DEP_1)
	v_mov_b32_e32 v2, s1
	s_cbranch_scc1 .LBB130_1
; %bb.2:
	v_add_co_u32 v0, s0, s2, v1
	s_delay_alu instid0(VALU_DEP_1)
	v_add_co_ci_u32_e64 v1, null, s3, 0, s0
	v_mov_b32_e32 v2, s1
	global_store_b8 v[0:1], v2, off
	s_nop 0
	s_sendmsg sendmsg(MSG_DEALLOC_VGPRS)
	s_endpgm
	.section	.rodata,"a",@progbits
	.p2align	6, 0x0
	.amdhsa_kernel _Z6kernelI9broadcastaLj32ELj100EEvPKT0_PS1_S1_
		.amdhsa_group_segment_fixed_size 0
		.amdhsa_private_segment_fixed_size 0
		.amdhsa_kernarg_size 280
		.amdhsa_user_sgpr_count 15
		.amdhsa_user_sgpr_dispatch_ptr 0
		.amdhsa_user_sgpr_queue_ptr 0
		.amdhsa_user_sgpr_kernarg_segment_ptr 1
		.amdhsa_user_sgpr_dispatch_id 0
		.amdhsa_user_sgpr_private_segment_size 0
		.amdhsa_wavefront_size32 1
		.amdhsa_uses_dynamic_stack 0
		.amdhsa_enable_private_segment 0
		.amdhsa_system_sgpr_workgroup_id_x 1
		.amdhsa_system_sgpr_workgroup_id_y 0
		.amdhsa_system_sgpr_workgroup_id_z 0
		.amdhsa_system_sgpr_workgroup_info 0
		.amdhsa_system_vgpr_workitem_id 0
		.amdhsa_next_free_vgpr 3
		.amdhsa_next_free_sgpr 16
		.amdhsa_reserve_vcc 0
		.amdhsa_float_round_mode_32 0
		.amdhsa_float_round_mode_16_64 0
		.amdhsa_float_denorm_mode_32 3
		.amdhsa_float_denorm_mode_16_64 3
		.amdhsa_dx10_clamp 1
		.amdhsa_ieee_mode 1
		.amdhsa_fp16_overflow 0
		.amdhsa_workgroup_processor_mode 1
		.amdhsa_memory_ordered 1
		.amdhsa_forward_progress 0
		.amdhsa_shared_vgpr_count 0
		.amdhsa_exception_fp_ieee_invalid_op 0
		.amdhsa_exception_fp_denorm_src 0
		.amdhsa_exception_fp_ieee_div_zero 0
		.amdhsa_exception_fp_ieee_overflow 0
		.amdhsa_exception_fp_ieee_underflow 0
		.amdhsa_exception_fp_ieee_inexact 0
		.amdhsa_exception_int_div_zero 0
	.end_amdhsa_kernel
	.section	.text._Z6kernelI9broadcastaLj32ELj100EEvPKT0_PS1_S1_,"axG",@progbits,_Z6kernelI9broadcastaLj32ELj100EEvPKT0_PS1_S1_,comdat
.Lfunc_end130:
	.size	_Z6kernelI9broadcastaLj32ELj100EEvPKT0_PS1_S1_, .Lfunc_end130-_Z6kernelI9broadcastaLj32ELj100EEvPKT0_PS1_S1_
                                        ; -- End function
	.section	.AMDGPU.csdata,"",@progbits
; Kernel info:
; codeLenInByte = 160
; NumSgprs: 16
; NumVgprs: 3
; ScratchSize: 0
; MemoryBound: 0
; FloatMode: 240
; IeeeMode: 1
; LDSByteSize: 0 bytes/workgroup (compile time only)
; SGPRBlocks: 1
; VGPRBlocks: 0
; NumSGPRsForWavesPerEU: 16
; NumVGPRsForWavesPerEU: 3
; Occupancy: 16
; WaveLimiterHint : 0
; COMPUTE_PGM_RSRC2:SCRATCH_EN: 0
; COMPUTE_PGM_RSRC2:USER_SGPR: 15
; COMPUTE_PGM_RSRC2:TRAP_HANDLER: 0
; COMPUTE_PGM_RSRC2:TGID_X_EN: 1
; COMPUTE_PGM_RSRC2:TGID_Y_EN: 0
; COMPUTE_PGM_RSRC2:TGID_Z_EN: 0
; COMPUTE_PGM_RSRC2:TIDIG_COMP_CNT: 0
	.section	.text._Z6kernelI9broadcastaLj16ELj100EEvPKT0_PS1_S1_,"axG",@progbits,_Z6kernelI9broadcastaLj16ELj100EEvPKT0_PS1_S1_,comdat
	.protected	_Z6kernelI9broadcastaLj16ELj100EEvPKT0_PS1_S1_ ; -- Begin function _Z6kernelI9broadcastaLj16ELj100EEvPKT0_PS1_S1_
	.globl	_Z6kernelI9broadcastaLj16ELj100EEvPKT0_PS1_S1_
	.p2align	8
	.type	_Z6kernelI9broadcastaLj16ELj100EEvPKT0_PS1_S1_,@function
_Z6kernelI9broadcastaLj16ELj100EEvPKT0_PS1_S1_: ; @_Z6kernelI9broadcastaLj16ELj100EEvPKT0_PS1_S1_
; %bb.0:
	s_clause 0x1
	s_load_b32 s4, s[0:1], 0x24
	s_load_b128 s[0:3], s[0:1], 0x0
	s_waitcnt lgkmcnt(0)
	s_and_b32 s4, s4, 0xffff
	s_delay_alu instid0(SALU_CYCLE_1) | instskip(SKIP_1) | instid1(VALU_DEP_1)
	v_mad_u64_u32 v[1:2], null, s15, s4, v[0:1]
	v_mbcnt_lo_u32_b32 v2, -1, 0
	v_and_b32_e32 v2, 16, v2
	global_load_u8 v0, v1, s[0:1]
	v_lshrrev_b32_e32 v3, 4, v1
	s_movk_i32 s0, 0x64
	s_delay_alu instid0(VALU_DEP_1) | instskip(NEXT) | instid1(VALU_DEP_1)
	v_and_or_b32 v2, v3, 15, v2
	v_lshlrev_b32_e32 v2, 2, v2
.LBB131_1:                              ; =>This Inner Loop Header: Depth=1
	s_waitcnt vmcnt(0) lgkmcnt(0)
	v_and_b32_e32 v0, 0xff, v0
	s_add_i32 s0, s0, -1
	s_delay_alu instid0(SALU_CYCLE_1)
	s_cmp_lg_u32 s0, 0
	ds_bpermute_b32 v0, v2, v0
	s_cbranch_scc1 .LBB131_1
; %bb.2:
	v_add_co_u32 v1, s0, s2, v1
	s_delay_alu instid0(VALU_DEP_1)
	v_add_co_ci_u32_e64 v2, null, s3, 0, s0
	s_waitcnt lgkmcnt(0)
	global_store_b8 v[1:2], v0, off
	s_nop 0
	s_sendmsg sendmsg(MSG_DEALLOC_VGPRS)
	s_endpgm
	.section	.rodata,"a",@progbits
	.p2align	6, 0x0
	.amdhsa_kernel _Z6kernelI9broadcastaLj16ELj100EEvPKT0_PS1_S1_
		.amdhsa_group_segment_fixed_size 0
		.amdhsa_private_segment_fixed_size 0
		.amdhsa_kernarg_size 280
		.amdhsa_user_sgpr_count 15
		.amdhsa_user_sgpr_dispatch_ptr 0
		.amdhsa_user_sgpr_queue_ptr 0
		.amdhsa_user_sgpr_kernarg_segment_ptr 1
		.amdhsa_user_sgpr_dispatch_id 0
		.amdhsa_user_sgpr_private_segment_size 0
		.amdhsa_wavefront_size32 1
		.amdhsa_uses_dynamic_stack 0
		.amdhsa_enable_private_segment 0
		.amdhsa_system_sgpr_workgroup_id_x 1
		.amdhsa_system_sgpr_workgroup_id_y 0
		.amdhsa_system_sgpr_workgroup_id_z 0
		.amdhsa_system_sgpr_workgroup_info 0
		.amdhsa_system_vgpr_workitem_id 0
		.amdhsa_next_free_vgpr 4
		.amdhsa_next_free_sgpr 16
		.amdhsa_reserve_vcc 0
		.amdhsa_float_round_mode_32 0
		.amdhsa_float_round_mode_16_64 0
		.amdhsa_float_denorm_mode_32 3
		.amdhsa_float_denorm_mode_16_64 3
		.amdhsa_dx10_clamp 1
		.amdhsa_ieee_mode 1
		.amdhsa_fp16_overflow 0
		.amdhsa_workgroup_processor_mode 1
		.amdhsa_memory_ordered 1
		.amdhsa_forward_progress 0
		.amdhsa_shared_vgpr_count 0
		.amdhsa_exception_fp_ieee_invalid_op 0
		.amdhsa_exception_fp_denorm_src 0
		.amdhsa_exception_fp_ieee_div_zero 0
		.amdhsa_exception_fp_ieee_overflow 0
		.amdhsa_exception_fp_ieee_underflow 0
		.amdhsa_exception_fp_ieee_inexact 0
		.amdhsa_exception_int_div_zero 0
	.end_amdhsa_kernel
	.section	.text._Z6kernelI9broadcastaLj16ELj100EEvPKT0_PS1_S1_,"axG",@progbits,_Z6kernelI9broadcastaLj16ELj100EEvPKT0_PS1_S1_,comdat
.Lfunc_end131:
	.size	_Z6kernelI9broadcastaLj16ELj100EEvPKT0_PS1_S1_, .Lfunc_end131-_Z6kernelI9broadcastaLj16ELj100EEvPKT0_PS1_S1_
                                        ; -- End function
	.section	.AMDGPU.csdata,"",@progbits
; Kernel info:
; codeLenInByte = 168
; NumSgprs: 16
; NumVgprs: 4
; ScratchSize: 0
; MemoryBound: 0
; FloatMode: 240
; IeeeMode: 1
; LDSByteSize: 0 bytes/workgroup (compile time only)
; SGPRBlocks: 1
; VGPRBlocks: 0
; NumSGPRsForWavesPerEU: 16
; NumVGPRsForWavesPerEU: 4
; Occupancy: 16
; WaveLimiterHint : 0
; COMPUTE_PGM_RSRC2:SCRATCH_EN: 0
; COMPUTE_PGM_RSRC2:USER_SGPR: 15
; COMPUTE_PGM_RSRC2:TRAP_HANDLER: 0
; COMPUTE_PGM_RSRC2:TGID_X_EN: 1
; COMPUTE_PGM_RSRC2:TGID_Y_EN: 0
; COMPUTE_PGM_RSRC2:TGID_Z_EN: 0
; COMPUTE_PGM_RSRC2:TIDIG_COMP_CNT: 0
	.section	.text._Z6kernelI9broadcasthLj64ELj100EEvPKT0_PS1_S1_,"axG",@progbits,_Z6kernelI9broadcasthLj64ELj100EEvPKT0_PS1_S1_,comdat
	.protected	_Z6kernelI9broadcasthLj64ELj100EEvPKT0_PS1_S1_ ; -- Begin function _Z6kernelI9broadcasthLj64ELj100EEvPKT0_PS1_S1_
	.globl	_Z6kernelI9broadcasthLj64ELj100EEvPKT0_PS1_S1_
	.p2align	8
	.type	_Z6kernelI9broadcasthLj64ELj100EEvPKT0_PS1_S1_,@function
_Z6kernelI9broadcasthLj64ELj100EEvPKT0_PS1_S1_: ; @_Z6kernelI9broadcasthLj64ELj100EEvPKT0_PS1_S1_
; %bb.0:
	s_clause 0x1
	s_load_b32 s2, s[0:1], 0x24
	s_load_b64 s[0:1], s[0:1], 0x8
	s_waitcnt lgkmcnt(0)
	s_and_b32 s2, s2, 0xffff
	s_delay_alu instid0(SALU_CYCLE_1)
	v_mad_u64_u32 v[1:2], null, s15, s2, v[0:1]
	v_mov_b32_e32 v0, 0
	global_store_b8 v1, v0, s[0:1]
	s_nop 0
	s_sendmsg sendmsg(MSG_DEALLOC_VGPRS)
	s_endpgm
	.section	.rodata,"a",@progbits
	.p2align	6, 0x0
	.amdhsa_kernel _Z6kernelI9broadcasthLj64ELj100EEvPKT0_PS1_S1_
		.amdhsa_group_segment_fixed_size 0
		.amdhsa_private_segment_fixed_size 0
		.amdhsa_kernarg_size 280
		.amdhsa_user_sgpr_count 15
		.amdhsa_user_sgpr_dispatch_ptr 0
		.amdhsa_user_sgpr_queue_ptr 0
		.amdhsa_user_sgpr_kernarg_segment_ptr 1
		.amdhsa_user_sgpr_dispatch_id 0
		.amdhsa_user_sgpr_private_segment_size 0
		.amdhsa_wavefront_size32 1
		.amdhsa_uses_dynamic_stack 0
		.amdhsa_enable_private_segment 0
		.amdhsa_system_sgpr_workgroup_id_x 1
		.amdhsa_system_sgpr_workgroup_id_y 0
		.amdhsa_system_sgpr_workgroup_id_z 0
		.amdhsa_system_sgpr_workgroup_info 0
		.amdhsa_system_vgpr_workitem_id 0
		.amdhsa_next_free_vgpr 3
		.amdhsa_next_free_sgpr 16
		.amdhsa_reserve_vcc 0
		.amdhsa_float_round_mode_32 0
		.amdhsa_float_round_mode_16_64 0
		.amdhsa_float_denorm_mode_32 3
		.amdhsa_float_denorm_mode_16_64 3
		.amdhsa_dx10_clamp 1
		.amdhsa_ieee_mode 1
		.amdhsa_fp16_overflow 0
		.amdhsa_workgroup_processor_mode 1
		.amdhsa_memory_ordered 1
		.amdhsa_forward_progress 0
		.amdhsa_shared_vgpr_count 0
		.amdhsa_exception_fp_ieee_invalid_op 0
		.amdhsa_exception_fp_denorm_src 0
		.amdhsa_exception_fp_ieee_div_zero 0
		.amdhsa_exception_fp_ieee_overflow 0
		.amdhsa_exception_fp_ieee_underflow 0
		.amdhsa_exception_fp_ieee_inexact 0
		.amdhsa_exception_int_div_zero 0
	.end_amdhsa_kernel
	.section	.text._Z6kernelI9broadcasthLj64ELj100EEvPKT0_PS1_S1_,"axG",@progbits,_Z6kernelI9broadcasthLj64ELj100EEvPKT0_PS1_S1_,comdat
.Lfunc_end132:
	.size	_Z6kernelI9broadcasthLj64ELj100EEvPKT0_PS1_S1_, .Lfunc_end132-_Z6kernelI9broadcasthLj64ELj100EEvPKT0_PS1_S1_
                                        ; -- End function
	.section	.AMDGPU.csdata,"",@progbits
; Kernel info:
; codeLenInByte = 68
; NumSgprs: 16
; NumVgprs: 3
; ScratchSize: 0
; MemoryBound: 0
; FloatMode: 240
; IeeeMode: 1
; LDSByteSize: 0 bytes/workgroup (compile time only)
; SGPRBlocks: 1
; VGPRBlocks: 0
; NumSGPRsForWavesPerEU: 16
; NumVGPRsForWavesPerEU: 3
; Occupancy: 16
; WaveLimiterHint : 0
; COMPUTE_PGM_RSRC2:SCRATCH_EN: 0
; COMPUTE_PGM_RSRC2:USER_SGPR: 15
; COMPUTE_PGM_RSRC2:TRAP_HANDLER: 0
; COMPUTE_PGM_RSRC2:TGID_X_EN: 1
; COMPUTE_PGM_RSRC2:TGID_Y_EN: 0
; COMPUTE_PGM_RSRC2:TGID_Z_EN: 0
; COMPUTE_PGM_RSRC2:TIDIG_COMP_CNT: 0
	.section	.text._Z6kernelI9broadcasthLj32ELj100EEvPKT0_PS1_S1_,"axG",@progbits,_Z6kernelI9broadcasthLj32ELj100EEvPKT0_PS1_S1_,comdat
	.protected	_Z6kernelI9broadcasthLj32ELj100EEvPKT0_PS1_S1_ ; -- Begin function _Z6kernelI9broadcasthLj32ELj100EEvPKT0_PS1_S1_
	.globl	_Z6kernelI9broadcasthLj32ELj100EEvPKT0_PS1_S1_
	.p2align	8
	.type	_Z6kernelI9broadcasthLj32ELj100EEvPKT0_PS1_S1_,@function
_Z6kernelI9broadcasthLj32ELj100EEvPKT0_PS1_S1_: ; @_Z6kernelI9broadcasthLj32ELj100EEvPKT0_PS1_S1_
; %bb.0:
	s_clause 0x1
	s_load_b32 s4, s[0:1], 0x24
	s_load_b128 s[0:3], s[0:1], 0x0
	s_waitcnt lgkmcnt(0)
	s_and_b32 s4, s4, 0xffff
	s_delay_alu instid0(SALU_CYCLE_1)
	v_mad_u64_u32 v[1:2], null, s15, s4, v[0:1]
	global_load_u8 v2, v1, s[0:1]
	v_bfe_u32 v0, v1, 5, 5
	s_movk_i32 s0, 0x64
.LBB133_1:                              ; =>This Inner Loop Header: Depth=1
	s_delay_alu instid0(VALU_DEP_1) | instskip(SKIP_1) | instid1(VALU_DEP_2)
	v_readfirstlane_b32 s1, v0
	s_waitcnt vmcnt(0)
	v_and_b32_e32 v2, 0xff, v2
	s_add_i32 s0, s0, -1
	s_delay_alu instid0(SALU_CYCLE_1) | instskip(NEXT) | instid1(VALU_DEP_1)
	s_cmp_lg_u32 s0, 0
	v_readlane_b32 s1, v2, s1
	s_delay_alu instid0(VALU_DEP_1)
	v_mov_b32_e32 v2, s1
	s_cbranch_scc1 .LBB133_1
; %bb.2:
	v_add_co_u32 v0, s0, s2, v1
	s_delay_alu instid0(VALU_DEP_1)
	v_add_co_ci_u32_e64 v1, null, s3, 0, s0
	v_mov_b32_e32 v2, s1
	global_store_b8 v[0:1], v2, off
	s_nop 0
	s_sendmsg sendmsg(MSG_DEALLOC_VGPRS)
	s_endpgm
	.section	.rodata,"a",@progbits
	.p2align	6, 0x0
	.amdhsa_kernel _Z6kernelI9broadcasthLj32ELj100EEvPKT0_PS1_S1_
		.amdhsa_group_segment_fixed_size 0
		.amdhsa_private_segment_fixed_size 0
		.amdhsa_kernarg_size 280
		.amdhsa_user_sgpr_count 15
		.amdhsa_user_sgpr_dispatch_ptr 0
		.amdhsa_user_sgpr_queue_ptr 0
		.amdhsa_user_sgpr_kernarg_segment_ptr 1
		.amdhsa_user_sgpr_dispatch_id 0
		.amdhsa_user_sgpr_private_segment_size 0
		.amdhsa_wavefront_size32 1
		.amdhsa_uses_dynamic_stack 0
		.amdhsa_enable_private_segment 0
		.amdhsa_system_sgpr_workgroup_id_x 1
		.amdhsa_system_sgpr_workgroup_id_y 0
		.amdhsa_system_sgpr_workgroup_id_z 0
		.amdhsa_system_sgpr_workgroup_info 0
		.amdhsa_system_vgpr_workitem_id 0
		.amdhsa_next_free_vgpr 3
		.amdhsa_next_free_sgpr 16
		.amdhsa_reserve_vcc 0
		.amdhsa_float_round_mode_32 0
		.amdhsa_float_round_mode_16_64 0
		.amdhsa_float_denorm_mode_32 3
		.amdhsa_float_denorm_mode_16_64 3
		.amdhsa_dx10_clamp 1
		.amdhsa_ieee_mode 1
		.amdhsa_fp16_overflow 0
		.amdhsa_workgroup_processor_mode 1
		.amdhsa_memory_ordered 1
		.amdhsa_forward_progress 0
		.amdhsa_shared_vgpr_count 0
		.amdhsa_exception_fp_ieee_invalid_op 0
		.amdhsa_exception_fp_denorm_src 0
		.amdhsa_exception_fp_ieee_div_zero 0
		.amdhsa_exception_fp_ieee_overflow 0
		.amdhsa_exception_fp_ieee_underflow 0
		.amdhsa_exception_fp_ieee_inexact 0
		.amdhsa_exception_int_div_zero 0
	.end_amdhsa_kernel
	.section	.text._Z6kernelI9broadcasthLj32ELj100EEvPKT0_PS1_S1_,"axG",@progbits,_Z6kernelI9broadcasthLj32ELj100EEvPKT0_PS1_S1_,comdat
.Lfunc_end133:
	.size	_Z6kernelI9broadcasthLj32ELj100EEvPKT0_PS1_S1_, .Lfunc_end133-_Z6kernelI9broadcasthLj32ELj100EEvPKT0_PS1_S1_
                                        ; -- End function
	.section	.AMDGPU.csdata,"",@progbits
; Kernel info:
; codeLenInByte = 160
; NumSgprs: 16
; NumVgprs: 3
; ScratchSize: 0
; MemoryBound: 0
; FloatMode: 240
; IeeeMode: 1
; LDSByteSize: 0 bytes/workgroup (compile time only)
; SGPRBlocks: 1
; VGPRBlocks: 0
; NumSGPRsForWavesPerEU: 16
; NumVGPRsForWavesPerEU: 3
; Occupancy: 16
; WaveLimiterHint : 0
; COMPUTE_PGM_RSRC2:SCRATCH_EN: 0
; COMPUTE_PGM_RSRC2:USER_SGPR: 15
; COMPUTE_PGM_RSRC2:TRAP_HANDLER: 0
; COMPUTE_PGM_RSRC2:TGID_X_EN: 1
; COMPUTE_PGM_RSRC2:TGID_Y_EN: 0
; COMPUTE_PGM_RSRC2:TGID_Z_EN: 0
; COMPUTE_PGM_RSRC2:TIDIG_COMP_CNT: 0
	.section	.text._Z6kernelI9broadcasthLj16ELj100EEvPKT0_PS1_S1_,"axG",@progbits,_Z6kernelI9broadcasthLj16ELj100EEvPKT0_PS1_S1_,comdat
	.protected	_Z6kernelI9broadcasthLj16ELj100EEvPKT0_PS1_S1_ ; -- Begin function _Z6kernelI9broadcasthLj16ELj100EEvPKT0_PS1_S1_
	.globl	_Z6kernelI9broadcasthLj16ELj100EEvPKT0_PS1_S1_
	.p2align	8
	.type	_Z6kernelI9broadcasthLj16ELj100EEvPKT0_PS1_S1_,@function
_Z6kernelI9broadcasthLj16ELj100EEvPKT0_PS1_S1_: ; @_Z6kernelI9broadcasthLj16ELj100EEvPKT0_PS1_S1_
; %bb.0:
	s_clause 0x1
	s_load_b32 s4, s[0:1], 0x24
	s_load_b128 s[0:3], s[0:1], 0x0
	s_waitcnt lgkmcnt(0)
	s_and_b32 s4, s4, 0xffff
	s_delay_alu instid0(SALU_CYCLE_1) | instskip(SKIP_1) | instid1(VALU_DEP_1)
	v_mad_u64_u32 v[1:2], null, s15, s4, v[0:1]
	v_mbcnt_lo_u32_b32 v2, -1, 0
	v_and_b32_e32 v2, 16, v2
	global_load_u8 v0, v1, s[0:1]
	v_lshrrev_b32_e32 v3, 4, v1
	s_movk_i32 s0, 0x64
	s_delay_alu instid0(VALU_DEP_1) | instskip(NEXT) | instid1(VALU_DEP_1)
	v_and_or_b32 v2, v3, 15, v2
	v_lshlrev_b32_e32 v2, 2, v2
.LBB134_1:                              ; =>This Inner Loop Header: Depth=1
	s_waitcnt vmcnt(0) lgkmcnt(0)
	v_and_b32_e32 v0, 0xff, v0
	s_add_i32 s0, s0, -1
	s_delay_alu instid0(SALU_CYCLE_1)
	s_cmp_lg_u32 s0, 0
	ds_bpermute_b32 v0, v2, v0
	s_cbranch_scc1 .LBB134_1
; %bb.2:
	v_add_co_u32 v1, s0, s2, v1
	s_delay_alu instid0(VALU_DEP_1)
	v_add_co_ci_u32_e64 v2, null, s3, 0, s0
	s_waitcnt lgkmcnt(0)
	global_store_b8 v[1:2], v0, off
	s_nop 0
	s_sendmsg sendmsg(MSG_DEALLOC_VGPRS)
	s_endpgm
	.section	.rodata,"a",@progbits
	.p2align	6, 0x0
	.amdhsa_kernel _Z6kernelI9broadcasthLj16ELj100EEvPKT0_PS1_S1_
		.amdhsa_group_segment_fixed_size 0
		.amdhsa_private_segment_fixed_size 0
		.amdhsa_kernarg_size 280
		.amdhsa_user_sgpr_count 15
		.amdhsa_user_sgpr_dispatch_ptr 0
		.amdhsa_user_sgpr_queue_ptr 0
		.amdhsa_user_sgpr_kernarg_segment_ptr 1
		.amdhsa_user_sgpr_dispatch_id 0
		.amdhsa_user_sgpr_private_segment_size 0
		.amdhsa_wavefront_size32 1
		.amdhsa_uses_dynamic_stack 0
		.amdhsa_enable_private_segment 0
		.amdhsa_system_sgpr_workgroup_id_x 1
		.amdhsa_system_sgpr_workgroup_id_y 0
		.amdhsa_system_sgpr_workgroup_id_z 0
		.amdhsa_system_sgpr_workgroup_info 0
		.amdhsa_system_vgpr_workitem_id 0
		.amdhsa_next_free_vgpr 4
		.amdhsa_next_free_sgpr 16
		.amdhsa_reserve_vcc 0
		.amdhsa_float_round_mode_32 0
		.amdhsa_float_round_mode_16_64 0
		.amdhsa_float_denorm_mode_32 3
		.amdhsa_float_denorm_mode_16_64 3
		.amdhsa_dx10_clamp 1
		.amdhsa_ieee_mode 1
		.amdhsa_fp16_overflow 0
		.amdhsa_workgroup_processor_mode 1
		.amdhsa_memory_ordered 1
		.amdhsa_forward_progress 0
		.amdhsa_shared_vgpr_count 0
		.amdhsa_exception_fp_ieee_invalid_op 0
		.amdhsa_exception_fp_denorm_src 0
		.amdhsa_exception_fp_ieee_div_zero 0
		.amdhsa_exception_fp_ieee_overflow 0
		.amdhsa_exception_fp_ieee_underflow 0
		.amdhsa_exception_fp_ieee_inexact 0
		.amdhsa_exception_int_div_zero 0
	.end_amdhsa_kernel
	.section	.text._Z6kernelI9broadcasthLj16ELj100EEvPKT0_PS1_S1_,"axG",@progbits,_Z6kernelI9broadcasthLj16ELj100EEvPKT0_PS1_S1_,comdat
.Lfunc_end134:
	.size	_Z6kernelI9broadcasthLj16ELj100EEvPKT0_PS1_S1_, .Lfunc_end134-_Z6kernelI9broadcasthLj16ELj100EEvPKT0_PS1_S1_
                                        ; -- End function
	.section	.AMDGPU.csdata,"",@progbits
; Kernel info:
; codeLenInByte = 168
; NumSgprs: 16
; NumVgprs: 4
; ScratchSize: 0
; MemoryBound: 0
; FloatMode: 240
; IeeeMode: 1
; LDSByteSize: 0 bytes/workgroup (compile time only)
; SGPRBlocks: 1
; VGPRBlocks: 0
; NumSGPRsForWavesPerEU: 16
; NumVGPRsForWavesPerEU: 4
; Occupancy: 16
; WaveLimiterHint : 0
; COMPUTE_PGM_RSRC2:SCRATCH_EN: 0
; COMPUTE_PGM_RSRC2:USER_SGPR: 15
; COMPUTE_PGM_RSRC2:TRAP_HANDLER: 0
; COMPUTE_PGM_RSRC2:TGID_X_EN: 1
; COMPUTE_PGM_RSRC2:TGID_Y_EN: 0
; COMPUTE_PGM_RSRC2:TGID_Z_EN: 0
; COMPUTE_PGM_RSRC2:TIDIG_COMP_CNT: 0
	.section	.text._Z6kernelI9broadcast6__halfLj64ELj100EEvPKT0_PS2_S2_,"axG",@progbits,_Z6kernelI9broadcast6__halfLj64ELj100EEvPKT0_PS2_S2_,comdat
	.protected	_Z6kernelI9broadcast6__halfLj64ELj100EEvPKT0_PS2_S2_ ; -- Begin function _Z6kernelI9broadcast6__halfLj64ELj100EEvPKT0_PS2_S2_
	.globl	_Z6kernelI9broadcast6__halfLj64ELj100EEvPKT0_PS2_S2_
	.p2align	8
	.type	_Z6kernelI9broadcast6__halfLj64ELj100EEvPKT0_PS2_S2_,@function
_Z6kernelI9broadcast6__halfLj64ELj100EEvPKT0_PS2_S2_: ; @_Z6kernelI9broadcast6__halfLj64ELj100EEvPKT0_PS2_S2_
; %bb.0:
	s_clause 0x1
	s_load_b32 s2, s[0:1], 0x24
	s_load_b64 s[0:1], s[0:1], 0x8
	s_waitcnt lgkmcnt(0)
	s_and_b32 s2, s2, 0xffff
	s_delay_alu instid0(SALU_CYCLE_1) | instskip(SKIP_1) | instid1(VALU_DEP_1)
	v_mad_u64_u32 v[1:2], null, s15, s2, v[0:1]
	v_mov_b32_e32 v2, 0
	v_lshlrev_b64 v[0:1], 1, v[1:2]
	s_delay_alu instid0(VALU_DEP_1) | instskip(NEXT) | instid1(VALU_DEP_2)
	v_add_co_u32 v0, vcc_lo, s0, v0
	v_add_co_ci_u32_e32 v1, vcc_lo, s1, v1, vcc_lo
	global_store_b16 v[0:1], v2, off
	s_nop 0
	s_sendmsg sendmsg(MSG_DEALLOC_VGPRS)
	s_endpgm
	.section	.rodata,"a",@progbits
	.p2align	6, 0x0
	.amdhsa_kernel _Z6kernelI9broadcast6__halfLj64ELj100EEvPKT0_PS2_S2_
		.amdhsa_group_segment_fixed_size 0
		.amdhsa_private_segment_fixed_size 0
		.amdhsa_kernarg_size 280
		.amdhsa_user_sgpr_count 15
		.amdhsa_user_sgpr_dispatch_ptr 0
		.amdhsa_user_sgpr_queue_ptr 0
		.amdhsa_user_sgpr_kernarg_segment_ptr 1
		.amdhsa_user_sgpr_dispatch_id 0
		.amdhsa_user_sgpr_private_segment_size 0
		.amdhsa_wavefront_size32 1
		.amdhsa_uses_dynamic_stack 0
		.amdhsa_enable_private_segment 0
		.amdhsa_system_sgpr_workgroup_id_x 1
		.amdhsa_system_sgpr_workgroup_id_y 0
		.amdhsa_system_sgpr_workgroup_id_z 0
		.amdhsa_system_sgpr_workgroup_info 0
		.amdhsa_system_vgpr_workitem_id 0
		.amdhsa_next_free_vgpr 3
		.amdhsa_next_free_sgpr 16
		.amdhsa_reserve_vcc 1
		.amdhsa_float_round_mode_32 0
		.amdhsa_float_round_mode_16_64 0
		.amdhsa_float_denorm_mode_32 3
		.amdhsa_float_denorm_mode_16_64 3
		.amdhsa_dx10_clamp 1
		.amdhsa_ieee_mode 1
		.amdhsa_fp16_overflow 0
		.amdhsa_workgroup_processor_mode 1
		.amdhsa_memory_ordered 1
		.amdhsa_forward_progress 0
		.amdhsa_shared_vgpr_count 0
		.amdhsa_exception_fp_ieee_invalid_op 0
		.amdhsa_exception_fp_denorm_src 0
		.amdhsa_exception_fp_ieee_div_zero 0
		.amdhsa_exception_fp_ieee_overflow 0
		.amdhsa_exception_fp_ieee_underflow 0
		.amdhsa_exception_fp_ieee_inexact 0
		.amdhsa_exception_int_div_zero 0
	.end_amdhsa_kernel
	.section	.text._Z6kernelI9broadcast6__halfLj64ELj100EEvPKT0_PS2_S2_,"axG",@progbits,_Z6kernelI9broadcast6__halfLj64ELj100EEvPKT0_PS2_S2_,comdat
.Lfunc_end135:
	.size	_Z6kernelI9broadcast6__halfLj64ELj100EEvPKT0_PS2_S2_, .Lfunc_end135-_Z6kernelI9broadcast6__halfLj64ELj100EEvPKT0_PS2_S2_
                                        ; -- End function
	.section	.AMDGPU.csdata,"",@progbits
; Kernel info:
; codeLenInByte = 92
; NumSgprs: 18
; NumVgprs: 3
; ScratchSize: 0
; MemoryBound: 0
; FloatMode: 240
; IeeeMode: 1
; LDSByteSize: 0 bytes/workgroup (compile time only)
; SGPRBlocks: 2
; VGPRBlocks: 0
; NumSGPRsForWavesPerEU: 18
; NumVGPRsForWavesPerEU: 3
; Occupancy: 16
; WaveLimiterHint : 0
; COMPUTE_PGM_RSRC2:SCRATCH_EN: 0
; COMPUTE_PGM_RSRC2:USER_SGPR: 15
; COMPUTE_PGM_RSRC2:TRAP_HANDLER: 0
; COMPUTE_PGM_RSRC2:TGID_X_EN: 1
; COMPUTE_PGM_RSRC2:TGID_Y_EN: 0
; COMPUTE_PGM_RSRC2:TGID_Z_EN: 0
; COMPUTE_PGM_RSRC2:TIDIG_COMP_CNT: 0
	.section	.text._Z6kernelI9broadcast6__halfLj32ELj100EEvPKT0_PS2_S2_,"axG",@progbits,_Z6kernelI9broadcast6__halfLj32ELj100EEvPKT0_PS2_S2_,comdat
	.protected	_Z6kernelI9broadcast6__halfLj32ELj100EEvPKT0_PS2_S2_ ; -- Begin function _Z6kernelI9broadcast6__halfLj32ELj100EEvPKT0_PS2_S2_
	.globl	_Z6kernelI9broadcast6__halfLj32ELj100EEvPKT0_PS2_S2_
	.p2align	8
	.type	_Z6kernelI9broadcast6__halfLj32ELj100EEvPKT0_PS2_S2_,@function
_Z6kernelI9broadcast6__halfLj32ELj100EEvPKT0_PS2_S2_: ; @_Z6kernelI9broadcast6__halfLj32ELj100EEvPKT0_PS2_S2_
; %bb.0:
	s_clause 0x1
	s_load_b32 s4, s[0:1], 0x24
	s_load_b128 s[0:3], s[0:1], 0x0
	s_waitcnt lgkmcnt(0)
	s_and_b32 s4, s4, 0xffff
	s_delay_alu instid0(SALU_CYCLE_1) | instskip(SKIP_1) | instid1(VALU_DEP_1)
	v_mad_u64_u32 v[2:3], null, s15, s4, v[0:1]
	v_mov_b32_e32 v3, 0
	v_lshlrev_b64 v[0:1], 1, v[2:3]
	v_bfe_u32 v2, v2, 5, 5
	s_delay_alu instid0(VALU_DEP_2) | instskip(NEXT) | instid1(VALU_DEP_3)
	v_add_co_u32 v3, vcc_lo, s0, v0
	v_add_co_ci_u32_e32 v4, vcc_lo, s1, v1, vcc_lo
	s_movk_i32 s0, 0x64
	global_load_u16 v3, v[3:4], off
.LBB136_1:                              ; =>This Inner Loop Header: Depth=1
	v_readfirstlane_b32 s1, v2
	s_waitcnt vmcnt(0)
	s_delay_alu instid0(VALU_DEP_2) | instskip(SKIP_1) | instid1(SALU_CYCLE_1)
	v_and_b32_e32 v3, 0xffff, v3
	s_add_i32 s0, s0, -1
	s_cmp_lg_u32 s0, 0
	s_delay_alu instid0(VALU_DEP_1) | instskip(NEXT) | instid1(VALU_DEP_1)
	v_readlane_b32 s1, v3, s1
	v_mov_b32_e32 v3, s1
	s_cbranch_scc1 .LBB136_1
; %bb.2:
	v_add_co_u32 v0, vcc_lo, s2, v0
	v_add_co_ci_u32_e32 v1, vcc_lo, s3, v1, vcc_lo
	v_mov_b32_e32 v2, s1
	global_store_b16 v[0:1], v2, off
	s_nop 0
	s_sendmsg sendmsg(MSG_DEALLOC_VGPRS)
	s_endpgm
	.section	.rodata,"a",@progbits
	.p2align	6, 0x0
	.amdhsa_kernel _Z6kernelI9broadcast6__halfLj32ELj100EEvPKT0_PS2_S2_
		.amdhsa_group_segment_fixed_size 0
		.amdhsa_private_segment_fixed_size 0
		.amdhsa_kernarg_size 280
		.amdhsa_user_sgpr_count 15
		.amdhsa_user_sgpr_dispatch_ptr 0
		.amdhsa_user_sgpr_queue_ptr 0
		.amdhsa_user_sgpr_kernarg_segment_ptr 1
		.amdhsa_user_sgpr_dispatch_id 0
		.amdhsa_user_sgpr_private_segment_size 0
		.amdhsa_wavefront_size32 1
		.amdhsa_uses_dynamic_stack 0
		.amdhsa_enable_private_segment 0
		.amdhsa_system_sgpr_workgroup_id_x 1
		.amdhsa_system_sgpr_workgroup_id_y 0
		.amdhsa_system_sgpr_workgroup_id_z 0
		.amdhsa_system_sgpr_workgroup_info 0
		.amdhsa_system_vgpr_workitem_id 0
		.amdhsa_next_free_vgpr 5
		.amdhsa_next_free_sgpr 16
		.amdhsa_reserve_vcc 1
		.amdhsa_float_round_mode_32 0
		.amdhsa_float_round_mode_16_64 0
		.amdhsa_float_denorm_mode_32 3
		.amdhsa_float_denorm_mode_16_64 3
		.amdhsa_dx10_clamp 1
		.amdhsa_ieee_mode 1
		.amdhsa_fp16_overflow 0
		.amdhsa_workgroup_processor_mode 1
		.amdhsa_memory_ordered 1
		.amdhsa_forward_progress 0
		.amdhsa_shared_vgpr_count 0
		.amdhsa_exception_fp_ieee_invalid_op 0
		.amdhsa_exception_fp_denorm_src 0
		.amdhsa_exception_fp_ieee_div_zero 0
		.amdhsa_exception_fp_ieee_overflow 0
		.amdhsa_exception_fp_ieee_underflow 0
		.amdhsa_exception_fp_ieee_inexact 0
		.amdhsa_exception_int_div_zero 0
	.end_amdhsa_kernel
	.section	.text._Z6kernelI9broadcast6__halfLj32ELj100EEvPKT0_PS2_S2_,"axG",@progbits,_Z6kernelI9broadcast6__halfLj32ELj100EEvPKT0_PS2_S2_,comdat
.Lfunc_end136:
	.size	_Z6kernelI9broadcast6__halfLj32ELj100EEvPKT0_PS2_S2_, .Lfunc_end136-_Z6kernelI9broadcast6__halfLj32ELj100EEvPKT0_PS2_S2_
                                        ; -- End function
	.section	.AMDGPU.csdata,"",@progbits
; Kernel info:
; codeLenInByte = 176
; NumSgprs: 18
; NumVgprs: 5
; ScratchSize: 0
; MemoryBound: 0
; FloatMode: 240
; IeeeMode: 1
; LDSByteSize: 0 bytes/workgroup (compile time only)
; SGPRBlocks: 2
; VGPRBlocks: 0
; NumSGPRsForWavesPerEU: 18
; NumVGPRsForWavesPerEU: 5
; Occupancy: 16
; WaveLimiterHint : 0
; COMPUTE_PGM_RSRC2:SCRATCH_EN: 0
; COMPUTE_PGM_RSRC2:USER_SGPR: 15
; COMPUTE_PGM_RSRC2:TRAP_HANDLER: 0
; COMPUTE_PGM_RSRC2:TGID_X_EN: 1
; COMPUTE_PGM_RSRC2:TGID_Y_EN: 0
; COMPUTE_PGM_RSRC2:TGID_Z_EN: 0
; COMPUTE_PGM_RSRC2:TIDIG_COMP_CNT: 0
	.section	.text._Z6kernelI9broadcast6__halfLj16ELj100EEvPKT0_PS2_S2_,"axG",@progbits,_Z6kernelI9broadcast6__halfLj16ELj100EEvPKT0_PS2_S2_,comdat
	.protected	_Z6kernelI9broadcast6__halfLj16ELj100EEvPKT0_PS2_S2_ ; -- Begin function _Z6kernelI9broadcast6__halfLj16ELj100EEvPKT0_PS2_S2_
	.globl	_Z6kernelI9broadcast6__halfLj16ELj100EEvPKT0_PS2_S2_
	.p2align	8
	.type	_Z6kernelI9broadcast6__halfLj16ELj100EEvPKT0_PS2_S2_,@function
_Z6kernelI9broadcast6__halfLj16ELj100EEvPKT0_PS2_S2_: ; @_Z6kernelI9broadcast6__halfLj16ELj100EEvPKT0_PS2_S2_
; %bb.0:
	s_clause 0x1
	s_load_b32 s4, s[0:1], 0x24
	s_load_b128 s[0:3], s[0:1], 0x0
	s_waitcnt lgkmcnt(0)
	s_and_b32 s4, s4, 0xffff
	s_delay_alu instid0(SALU_CYCLE_1) | instskip(SKIP_1) | instid1(VALU_DEP_1)
	v_mad_u64_u32 v[3:4], null, s15, s4, v[0:1]
	v_mov_b32_e32 v4, 0
	v_lshlrev_b64 v[0:1], 1, v[3:4]
	v_lshrrev_b32_e32 v3, 4, v3
	s_delay_alu instid0(VALU_DEP_2) | instskip(NEXT) | instid1(VALU_DEP_3)
	v_add_co_u32 v4, vcc_lo, s0, v0
	v_add_co_ci_u32_e32 v5, vcc_lo, s1, v1, vcc_lo
	s_movk_i32 s0, 0x64
	global_load_u16 v2, v[4:5], off
	v_mbcnt_lo_u32_b32 v4, -1, 0
	s_delay_alu instid0(VALU_DEP_1) | instskip(NEXT) | instid1(VALU_DEP_1)
	v_and_b32_e32 v4, 16, v4
	v_and_or_b32 v3, v3, 15, v4
	s_delay_alu instid0(VALU_DEP_1)
	v_lshlrev_b32_e32 v3, 2, v3
.LBB137_1:                              ; =>This Inner Loop Header: Depth=1
	s_waitcnt vmcnt(0) lgkmcnt(0)
	v_and_b32_e32 v2, 0xffff, v2
	s_add_i32 s0, s0, -1
	s_delay_alu instid0(SALU_CYCLE_1)
	s_cmp_lg_u32 s0, 0
	ds_bpermute_b32 v2, v3, v2
	s_cbranch_scc1 .LBB137_1
; %bb.2:
	v_add_co_u32 v0, vcc_lo, s2, v0
	v_add_co_ci_u32_e32 v1, vcc_lo, s3, v1, vcc_lo
	s_waitcnt lgkmcnt(0)
	global_store_b16 v[0:1], v2, off
	s_nop 0
	s_sendmsg sendmsg(MSG_DEALLOC_VGPRS)
	s_endpgm
	.section	.rodata,"a",@progbits
	.p2align	6, 0x0
	.amdhsa_kernel _Z6kernelI9broadcast6__halfLj16ELj100EEvPKT0_PS2_S2_
		.amdhsa_group_segment_fixed_size 0
		.amdhsa_private_segment_fixed_size 0
		.amdhsa_kernarg_size 280
		.amdhsa_user_sgpr_count 15
		.amdhsa_user_sgpr_dispatch_ptr 0
		.amdhsa_user_sgpr_queue_ptr 0
		.amdhsa_user_sgpr_kernarg_segment_ptr 1
		.amdhsa_user_sgpr_dispatch_id 0
		.amdhsa_user_sgpr_private_segment_size 0
		.amdhsa_wavefront_size32 1
		.amdhsa_uses_dynamic_stack 0
		.amdhsa_enable_private_segment 0
		.amdhsa_system_sgpr_workgroup_id_x 1
		.amdhsa_system_sgpr_workgroup_id_y 0
		.amdhsa_system_sgpr_workgroup_id_z 0
		.amdhsa_system_sgpr_workgroup_info 0
		.amdhsa_system_vgpr_workitem_id 0
		.amdhsa_next_free_vgpr 6
		.amdhsa_next_free_sgpr 16
		.amdhsa_reserve_vcc 1
		.amdhsa_float_round_mode_32 0
		.amdhsa_float_round_mode_16_64 0
		.amdhsa_float_denorm_mode_32 3
		.amdhsa_float_denorm_mode_16_64 3
		.amdhsa_dx10_clamp 1
		.amdhsa_ieee_mode 1
		.amdhsa_fp16_overflow 0
		.amdhsa_workgroup_processor_mode 1
		.amdhsa_memory_ordered 1
		.amdhsa_forward_progress 0
		.amdhsa_shared_vgpr_count 0
		.amdhsa_exception_fp_ieee_invalid_op 0
		.amdhsa_exception_fp_denorm_src 0
		.amdhsa_exception_fp_ieee_div_zero 0
		.amdhsa_exception_fp_ieee_overflow 0
		.amdhsa_exception_fp_ieee_underflow 0
		.amdhsa_exception_fp_ieee_inexact 0
		.amdhsa_exception_int_div_zero 0
	.end_amdhsa_kernel
	.section	.text._Z6kernelI9broadcast6__halfLj16ELj100EEvPKT0_PS2_S2_,"axG",@progbits,_Z6kernelI9broadcast6__halfLj16ELj100EEvPKT0_PS2_S2_,comdat
.Lfunc_end137:
	.size	_Z6kernelI9broadcast6__halfLj16ELj100EEvPKT0_PS2_S2_, .Lfunc_end137-_Z6kernelI9broadcast6__halfLj16ELj100EEvPKT0_PS2_S2_
                                        ; -- End function
	.section	.AMDGPU.csdata,"",@progbits
; Kernel info:
; codeLenInByte = 192
; NumSgprs: 18
; NumVgprs: 6
; ScratchSize: 0
; MemoryBound: 0
; FloatMode: 240
; IeeeMode: 1
; LDSByteSize: 0 bytes/workgroup (compile time only)
; SGPRBlocks: 2
; VGPRBlocks: 0
; NumSGPRsForWavesPerEU: 18
; NumVGPRsForWavesPerEU: 6
; Occupancy: 16
; WaveLimiterHint : 0
; COMPUTE_PGM_RSRC2:SCRATCH_EN: 0
; COMPUTE_PGM_RSRC2:USER_SGPR: 15
; COMPUTE_PGM_RSRC2:TRAP_HANDLER: 0
; COMPUTE_PGM_RSRC2:TGID_X_EN: 1
; COMPUTE_PGM_RSRC2:TGID_Y_EN: 0
; COMPUTE_PGM_RSRC2:TGID_Z_EN: 0
; COMPUTE_PGM_RSRC2:TIDIG_COMP_CNT: 0
	.section	.text._Z6kernelI9broadcastN6common11custom_typeIddLb0EEELj64ELj100EEvPKT0_PS4_S4_,"axG",@progbits,_Z6kernelI9broadcastN6common11custom_typeIddLb0EEELj64ELj100EEvPKT0_PS4_S4_,comdat
	.protected	_Z6kernelI9broadcastN6common11custom_typeIddLb0EEELj64ELj100EEvPKT0_PS4_S4_ ; -- Begin function _Z6kernelI9broadcastN6common11custom_typeIddLb0EEELj64ELj100EEvPKT0_PS4_S4_
	.globl	_Z6kernelI9broadcastN6common11custom_typeIddLb0EEELj64ELj100EEvPKT0_PS4_S4_
	.p2align	8
	.type	_Z6kernelI9broadcastN6common11custom_typeIddLb0EEELj64ELj100EEvPKT0_PS4_S4_,@function
_Z6kernelI9broadcastN6common11custom_typeIddLb0EEELj64ELj100EEvPKT0_PS4_S4_: ; @_Z6kernelI9broadcastN6common11custom_typeIddLb0EEELj64ELj100EEvPKT0_PS4_S4_
; %bb.0:
	s_clause 0x1
	s_load_b32 s4, s[0:1], 0x2c
	s_load_b128 s[0:3], s[0:1], 0x0
	s_waitcnt lgkmcnt(0)
	s_and_b32 s4, s4, 0xffff
	s_delay_alu instid0(SALU_CYCLE_1) | instskip(SKIP_1) | instid1(VALU_DEP_1)
	v_mad_u64_u32 v[1:2], null, s15, s4, v[0:1]
	v_mov_b32_e32 v2, 0
	v_lshlrev_b64 v[8:9], 4, v[1:2]
	s_delay_alu instid0(VALU_DEP_1) | instskip(NEXT) | instid1(VALU_DEP_2)
	v_add_co_u32 v0, vcc_lo, s0, v8
	v_add_co_ci_u32_e32 v1, vcc_lo, s1, v9, vcc_lo
	s_movk_i32 s0, 0x65
	global_load_b128 v[4:7], v[0:1], off
.LBB138_1:                              ; =>This Inner Loop Header: Depth=1
	s_waitcnt vmcnt(0)
	v_dual_mov_b32 v0, v4 :: v_dual_mov_b32 v1, v5
	v_mov_b32_e32 v4, 0
	v_dual_mov_b32 v2, v6 :: v_dual_mov_b32 v3, v7
	v_dual_mov_b32 v5, 0 :: v_dual_mov_b32 v6, 0
	v_mov_b32_e32 v7, 0
	s_add_i32 s0, s0, -1
	s_delay_alu instid0(SALU_CYCLE_1)
	s_cmp_lg_u32 s0, 0
	s_cbranch_scc1 .LBB138_1
; %bb.2:
	v_add_co_u32 v4, vcc_lo, s2, v8
	v_add_co_ci_u32_e32 v5, vcc_lo, s3, v9, vcc_lo
	global_store_b128 v[4:5], v[0:3], off
	s_nop 0
	s_sendmsg sendmsg(MSG_DEALLOC_VGPRS)
	s_endpgm
	.section	.rodata,"a",@progbits
	.p2align	6, 0x0
	.amdhsa_kernel _Z6kernelI9broadcastN6common11custom_typeIddLb0EEELj64ELj100EEvPKT0_PS4_S4_
		.amdhsa_group_segment_fixed_size 0
		.amdhsa_private_segment_fixed_size 0
		.amdhsa_kernarg_size 288
		.amdhsa_user_sgpr_count 15
		.amdhsa_user_sgpr_dispatch_ptr 0
		.amdhsa_user_sgpr_queue_ptr 0
		.amdhsa_user_sgpr_kernarg_segment_ptr 1
		.amdhsa_user_sgpr_dispatch_id 0
		.amdhsa_user_sgpr_private_segment_size 0
		.amdhsa_wavefront_size32 1
		.amdhsa_uses_dynamic_stack 0
		.amdhsa_enable_private_segment 0
		.amdhsa_system_sgpr_workgroup_id_x 1
		.amdhsa_system_sgpr_workgroup_id_y 0
		.amdhsa_system_sgpr_workgroup_id_z 0
		.amdhsa_system_sgpr_workgroup_info 0
		.amdhsa_system_vgpr_workitem_id 0
		.amdhsa_next_free_vgpr 10
		.amdhsa_next_free_sgpr 16
		.amdhsa_reserve_vcc 1
		.amdhsa_float_round_mode_32 0
		.amdhsa_float_round_mode_16_64 0
		.amdhsa_float_denorm_mode_32 3
		.amdhsa_float_denorm_mode_16_64 3
		.amdhsa_dx10_clamp 1
		.amdhsa_ieee_mode 1
		.amdhsa_fp16_overflow 0
		.amdhsa_workgroup_processor_mode 1
		.amdhsa_memory_ordered 1
		.amdhsa_forward_progress 0
		.amdhsa_shared_vgpr_count 0
		.amdhsa_exception_fp_ieee_invalid_op 0
		.amdhsa_exception_fp_denorm_src 0
		.amdhsa_exception_fp_ieee_div_zero 0
		.amdhsa_exception_fp_ieee_overflow 0
		.amdhsa_exception_fp_ieee_underflow 0
		.amdhsa_exception_fp_ieee_inexact 0
		.amdhsa_exception_int_div_zero 0
	.end_amdhsa_kernel
	.section	.text._Z6kernelI9broadcastN6common11custom_typeIddLb0EEELj64ELj100EEvPKT0_PS4_S4_,"axG",@progbits,_Z6kernelI9broadcastN6common11custom_typeIddLb0EEELj64ELj100EEvPKT0_PS4_S4_,comdat
.Lfunc_end138:
	.size	_Z6kernelI9broadcastN6common11custom_typeIddLb0EEELj64ELj100EEvPKT0_PS4_S4_, .Lfunc_end138-_Z6kernelI9broadcastN6common11custom_typeIddLb0EEELj64ELj100EEvPKT0_PS4_S4_
                                        ; -- End function
	.section	.AMDGPU.csdata,"",@progbits
; Kernel info:
; codeLenInByte = 168
; NumSgprs: 18
; NumVgprs: 10
; ScratchSize: 0
; MemoryBound: 0
; FloatMode: 240
; IeeeMode: 1
; LDSByteSize: 0 bytes/workgroup (compile time only)
; SGPRBlocks: 2
; VGPRBlocks: 1
; NumSGPRsForWavesPerEU: 18
; NumVGPRsForWavesPerEU: 10
; Occupancy: 16
; WaveLimiterHint : 0
; COMPUTE_PGM_RSRC2:SCRATCH_EN: 0
; COMPUTE_PGM_RSRC2:USER_SGPR: 15
; COMPUTE_PGM_RSRC2:TRAP_HANDLER: 0
; COMPUTE_PGM_RSRC2:TGID_X_EN: 1
; COMPUTE_PGM_RSRC2:TGID_Y_EN: 0
; COMPUTE_PGM_RSRC2:TGID_Z_EN: 0
; COMPUTE_PGM_RSRC2:TIDIG_COMP_CNT: 0
	.section	.text._Z6kernelI9broadcastN6common11custom_typeIddLb0EEELj32ELj100EEvPKT0_PS4_S4_,"axG",@progbits,_Z6kernelI9broadcastN6common11custom_typeIddLb0EEELj32ELj100EEvPKT0_PS4_S4_,comdat
	.protected	_Z6kernelI9broadcastN6common11custom_typeIddLb0EEELj32ELj100EEvPKT0_PS4_S4_ ; -- Begin function _Z6kernelI9broadcastN6common11custom_typeIddLb0EEELj32ELj100EEvPKT0_PS4_S4_
	.globl	_Z6kernelI9broadcastN6common11custom_typeIddLb0EEELj32ELj100EEvPKT0_PS4_S4_
	.p2align	8
	.type	_Z6kernelI9broadcastN6common11custom_typeIddLb0EEELj32ELj100EEvPKT0_PS4_S4_,@function
_Z6kernelI9broadcastN6common11custom_typeIddLb0EEELj32ELj100EEvPKT0_PS4_S4_: ; @_Z6kernelI9broadcastN6common11custom_typeIddLb0EEELj32ELj100EEvPKT0_PS4_S4_
; %bb.0:
	s_clause 0x1
	s_load_b32 s4, s[0:1], 0x2c
	s_load_b128 s[0:3], s[0:1], 0x0
	s_movk_i32 s6, 0x64
	s_waitcnt lgkmcnt(0)
	s_and_b32 s4, s4, 0xffff
	s_delay_alu instid0(SALU_CYCLE_1) | instskip(SKIP_1) | instid1(VALU_DEP_1)
	v_mad_u64_u32 v[6:7], null, s15, s4, v[0:1]
	v_mov_b32_e32 v7, 0
	v_lshlrev_b64 v[4:5], 4, v[6:7]
	v_bfe_u32 v6, v6, 5, 5
	s_delay_alu instid0(VALU_DEP_2) | instskip(NEXT) | instid1(VALU_DEP_3)
	v_add_co_u32 v0, vcc_lo, s0, v4
	v_add_co_ci_u32_e32 v1, vcc_lo, s1, v5, vcc_lo
	global_load_b128 v[0:3], v[0:1], off
.LBB139_1:                              ; =>This Inner Loop Header: Depth=1
	v_readfirstlane_b32 s1, v6
	s_add_i32 s6, s6, -1
	s_delay_alu instid0(SALU_CYCLE_1) | instskip(SKIP_1) | instid1(VALU_DEP_1)
	s_cmp_lg_u32 s6, 0
	s_waitcnt vmcnt(0)
	v_readlane_b32 s0, v0, s1
	v_readlane_b32 s4, v2, s1
	;; [unrolled: 1-line block ×4, first 2 shown]
	s_delay_alu instid0(VALU_DEP_4) | instskip(NEXT) | instid1(VALU_DEP_3)
	v_mov_b32_e32 v0, s0
	v_dual_mov_b32 v2, s4 :: v_dual_mov_b32 v3, s5
	s_delay_alu instid0(VALU_DEP_3)
	v_mov_b32_e32 v1, s1
	s_cbranch_scc1 .LBB139_1
; %bb.2:
	v_add_co_u32 v4, vcc_lo, s2, v4
	v_add_co_ci_u32_e32 v5, vcc_lo, s3, v5, vcc_lo
	v_dual_mov_b32 v0, s0 :: v_dual_mov_b32 v1, s1
	v_dual_mov_b32 v2, s4 :: v_dual_mov_b32 v3, s5
	global_store_b128 v[4:5], v[0:3], off
	s_nop 0
	s_sendmsg sendmsg(MSG_DEALLOC_VGPRS)
	s_endpgm
	.section	.rodata,"a",@progbits
	.p2align	6, 0x0
	.amdhsa_kernel _Z6kernelI9broadcastN6common11custom_typeIddLb0EEELj32ELj100EEvPKT0_PS4_S4_
		.amdhsa_group_segment_fixed_size 0
		.amdhsa_private_segment_fixed_size 0
		.amdhsa_kernarg_size 288
		.amdhsa_user_sgpr_count 15
		.amdhsa_user_sgpr_dispatch_ptr 0
		.amdhsa_user_sgpr_queue_ptr 0
		.amdhsa_user_sgpr_kernarg_segment_ptr 1
		.amdhsa_user_sgpr_dispatch_id 0
		.amdhsa_user_sgpr_private_segment_size 0
		.amdhsa_wavefront_size32 1
		.amdhsa_uses_dynamic_stack 0
		.amdhsa_enable_private_segment 0
		.amdhsa_system_sgpr_workgroup_id_x 1
		.amdhsa_system_sgpr_workgroup_id_y 0
		.amdhsa_system_sgpr_workgroup_id_z 0
		.amdhsa_system_sgpr_workgroup_info 0
		.amdhsa_system_vgpr_workitem_id 0
		.amdhsa_next_free_vgpr 8
		.amdhsa_next_free_sgpr 16
		.amdhsa_reserve_vcc 1
		.amdhsa_float_round_mode_32 0
		.amdhsa_float_round_mode_16_64 0
		.amdhsa_float_denorm_mode_32 3
		.amdhsa_float_denorm_mode_16_64 3
		.amdhsa_dx10_clamp 1
		.amdhsa_ieee_mode 1
		.amdhsa_fp16_overflow 0
		.amdhsa_workgroup_processor_mode 1
		.amdhsa_memory_ordered 1
		.amdhsa_forward_progress 0
		.amdhsa_shared_vgpr_count 0
		.amdhsa_exception_fp_ieee_invalid_op 0
		.amdhsa_exception_fp_denorm_src 0
		.amdhsa_exception_fp_ieee_div_zero 0
		.amdhsa_exception_fp_ieee_overflow 0
		.amdhsa_exception_fp_ieee_underflow 0
		.amdhsa_exception_fp_ieee_inexact 0
		.amdhsa_exception_int_div_zero 0
	.end_amdhsa_kernel
	.section	.text._Z6kernelI9broadcastN6common11custom_typeIddLb0EEELj32ELj100EEvPKT0_PS4_S4_,"axG",@progbits,_Z6kernelI9broadcastN6common11custom_typeIddLb0EEELj32ELj100EEvPKT0_PS4_S4_,comdat
.Lfunc_end139:
	.size	_Z6kernelI9broadcastN6common11custom_typeIddLb0EEELj32ELj100EEvPKT0_PS4_S4_, .Lfunc_end139-_Z6kernelI9broadcastN6common11custom_typeIddLb0EEELj32ELj100EEvPKT0_PS4_S4_
                                        ; -- End function
	.section	.AMDGPU.csdata,"",@progbits
; Kernel info:
; codeLenInByte = 220
; NumSgprs: 18
; NumVgprs: 8
; ScratchSize: 0
; MemoryBound: 0
; FloatMode: 240
; IeeeMode: 1
; LDSByteSize: 0 bytes/workgroup (compile time only)
; SGPRBlocks: 2
; VGPRBlocks: 0
; NumSGPRsForWavesPerEU: 18
; NumVGPRsForWavesPerEU: 8
; Occupancy: 16
; WaveLimiterHint : 0
; COMPUTE_PGM_RSRC2:SCRATCH_EN: 0
; COMPUTE_PGM_RSRC2:USER_SGPR: 15
; COMPUTE_PGM_RSRC2:TRAP_HANDLER: 0
; COMPUTE_PGM_RSRC2:TGID_X_EN: 1
; COMPUTE_PGM_RSRC2:TGID_Y_EN: 0
; COMPUTE_PGM_RSRC2:TGID_Z_EN: 0
; COMPUTE_PGM_RSRC2:TIDIG_COMP_CNT: 0
	.section	.text._Z6kernelI9broadcastN6common11custom_typeIddLb0EEELj16ELj100EEvPKT0_PS4_S4_,"axG",@progbits,_Z6kernelI9broadcastN6common11custom_typeIddLb0EEELj16ELj100EEvPKT0_PS4_S4_,comdat
	.protected	_Z6kernelI9broadcastN6common11custom_typeIddLb0EEELj16ELj100EEvPKT0_PS4_S4_ ; -- Begin function _Z6kernelI9broadcastN6common11custom_typeIddLb0EEELj16ELj100EEvPKT0_PS4_S4_
	.globl	_Z6kernelI9broadcastN6common11custom_typeIddLb0EEELj16ELj100EEvPKT0_PS4_S4_
	.p2align	8
	.type	_Z6kernelI9broadcastN6common11custom_typeIddLb0EEELj16ELj100EEvPKT0_PS4_S4_,@function
_Z6kernelI9broadcastN6common11custom_typeIddLb0EEELj16ELj100EEvPKT0_PS4_S4_: ; @_Z6kernelI9broadcastN6common11custom_typeIddLb0EEELj16ELj100EEvPKT0_PS4_S4_
; %bb.0:
	s_clause 0x1
	s_load_b32 s4, s[0:1], 0x2c
	s_load_b128 s[0:3], s[0:1], 0x0
	s_waitcnt lgkmcnt(0)
	s_and_b32 s4, s4, 0xffff
	s_delay_alu instid0(SALU_CYCLE_1) | instskip(SKIP_1) | instid1(VALU_DEP_1)
	v_mad_u64_u32 v[6:7], null, s15, s4, v[0:1]
	v_mov_b32_e32 v7, 0
	v_lshlrev_b64 v[4:5], 4, v[6:7]
	v_mbcnt_lo_u32_b32 v7, -1, 0
	v_lshrrev_b32_e32 v6, 4, v6
	s_delay_alu instid0(VALU_DEP_2) | instskip(NEXT) | instid1(VALU_DEP_4)
	v_and_b32_e32 v7, 16, v7
	v_add_co_u32 v0, vcc_lo, s0, v4
	v_add_co_ci_u32_e32 v1, vcc_lo, s1, v5, vcc_lo
	s_delay_alu instid0(VALU_DEP_3)
	v_and_or_b32 v6, v6, 15, v7
	s_movk_i32 s0, 0x64
	global_load_b128 v[0:3], v[0:1], off
	v_lshlrev_b32_e32 v6, 2, v6
.LBB140_1:                              ; =>This Inner Loop Header: Depth=1
	s_waitcnt vmcnt(0) lgkmcnt(3)
	ds_bpermute_b32 v0, v6, v0
	s_waitcnt lgkmcnt(3)
	ds_bpermute_b32 v1, v6, v1
	s_waitcnt lgkmcnt(3)
	;; [unrolled: 2-line block ×3, first 2 shown]
	ds_bpermute_b32 v3, v6, v3
	s_add_i32 s0, s0, -1
	s_delay_alu instid0(SALU_CYCLE_1)
	s_cmp_lg_u32 s0, 0
	s_cbranch_scc1 .LBB140_1
; %bb.2:
	v_add_co_u32 v4, vcc_lo, s2, v4
	v_add_co_ci_u32_e32 v5, vcc_lo, s3, v5, vcc_lo
	s_waitcnt lgkmcnt(0)
	global_store_b128 v[4:5], v[0:3], off
	s_nop 0
	s_sendmsg sendmsg(MSG_DEALLOC_VGPRS)
	s_endpgm
	.section	.rodata,"a",@progbits
	.p2align	6, 0x0
	.amdhsa_kernel _Z6kernelI9broadcastN6common11custom_typeIddLb0EEELj16ELj100EEvPKT0_PS4_S4_
		.amdhsa_group_segment_fixed_size 0
		.amdhsa_private_segment_fixed_size 0
		.amdhsa_kernarg_size 288
		.amdhsa_user_sgpr_count 15
		.amdhsa_user_sgpr_dispatch_ptr 0
		.amdhsa_user_sgpr_queue_ptr 0
		.amdhsa_user_sgpr_kernarg_segment_ptr 1
		.amdhsa_user_sgpr_dispatch_id 0
		.amdhsa_user_sgpr_private_segment_size 0
		.amdhsa_wavefront_size32 1
		.amdhsa_uses_dynamic_stack 0
		.amdhsa_enable_private_segment 0
		.amdhsa_system_sgpr_workgroup_id_x 1
		.amdhsa_system_sgpr_workgroup_id_y 0
		.amdhsa_system_sgpr_workgroup_id_z 0
		.amdhsa_system_sgpr_workgroup_info 0
		.amdhsa_system_vgpr_workitem_id 0
		.amdhsa_next_free_vgpr 8
		.amdhsa_next_free_sgpr 16
		.amdhsa_reserve_vcc 1
		.amdhsa_float_round_mode_32 0
		.amdhsa_float_round_mode_16_64 0
		.amdhsa_float_denorm_mode_32 3
		.amdhsa_float_denorm_mode_16_64 3
		.amdhsa_dx10_clamp 1
		.amdhsa_ieee_mode 1
		.amdhsa_fp16_overflow 0
		.amdhsa_workgroup_processor_mode 1
		.amdhsa_memory_ordered 1
		.amdhsa_forward_progress 0
		.amdhsa_shared_vgpr_count 0
		.amdhsa_exception_fp_ieee_invalid_op 0
		.amdhsa_exception_fp_denorm_src 0
		.amdhsa_exception_fp_ieee_div_zero 0
		.amdhsa_exception_fp_ieee_overflow 0
		.amdhsa_exception_fp_ieee_underflow 0
		.amdhsa_exception_fp_ieee_inexact 0
		.amdhsa_exception_int_div_zero 0
	.end_amdhsa_kernel
	.section	.text._Z6kernelI9broadcastN6common11custom_typeIddLb0EEELj16ELj100EEvPKT0_PS4_S4_,"axG",@progbits,_Z6kernelI9broadcastN6common11custom_typeIddLb0EEELj16ELj100EEvPKT0_PS4_S4_,comdat
.Lfunc_end140:
	.size	_Z6kernelI9broadcastN6common11custom_typeIddLb0EEELj16ELj100EEvPKT0_PS4_S4_, .Lfunc_end140-_Z6kernelI9broadcastN6common11custom_typeIddLb0EEELj16ELj100EEvPKT0_PS4_S4_
                                        ; -- End function
	.section	.AMDGPU.csdata,"",@progbits
; Kernel info:
; codeLenInByte = 216
; NumSgprs: 18
; NumVgprs: 8
; ScratchSize: 0
; MemoryBound: 0
; FloatMode: 240
; IeeeMode: 1
; LDSByteSize: 0 bytes/workgroup (compile time only)
; SGPRBlocks: 2
; VGPRBlocks: 0
; NumSGPRsForWavesPerEU: 18
; NumVGPRsForWavesPerEU: 8
; Occupancy: 16
; WaveLimiterHint : 0
; COMPUTE_PGM_RSRC2:SCRATCH_EN: 0
; COMPUTE_PGM_RSRC2:USER_SGPR: 15
; COMPUTE_PGM_RSRC2:TRAP_HANDLER: 0
; COMPUTE_PGM_RSRC2:TGID_X_EN: 1
; COMPUTE_PGM_RSRC2:TGID_Y_EN: 0
; COMPUTE_PGM_RSRC2:TGID_Z_EN: 0
; COMPUTE_PGM_RSRC2:TIDIG_COMP_CNT: 0
	.section	.text._Z6kernelI9broadcastN6common11custom_typeIidLb0EEELj64ELj100EEvPKT0_PS4_S4_,"axG",@progbits,_Z6kernelI9broadcastN6common11custom_typeIidLb0EEELj64ELj100EEvPKT0_PS4_S4_,comdat
	.protected	_Z6kernelI9broadcastN6common11custom_typeIidLb0EEELj64ELj100EEvPKT0_PS4_S4_ ; -- Begin function _Z6kernelI9broadcastN6common11custom_typeIidLb0EEELj64ELj100EEvPKT0_PS4_S4_
	.globl	_Z6kernelI9broadcastN6common11custom_typeIidLb0EEELj64ELj100EEvPKT0_PS4_S4_
	.p2align	8
	.type	_Z6kernelI9broadcastN6common11custom_typeIidLb0EEELj64ELj100EEvPKT0_PS4_S4_,@function
_Z6kernelI9broadcastN6common11custom_typeIidLb0EEELj64ELj100EEvPKT0_PS4_S4_: ; @_Z6kernelI9broadcastN6common11custom_typeIidLb0EEELj64ELj100EEvPKT0_PS4_S4_
; %bb.0:
	s_clause 0x1
	s_load_b32 s4, s[0:1], 0x2c
	s_load_b128 s[0:3], s[0:1], 0x0
	s_waitcnt lgkmcnt(0)
	s_and_b32 s4, s4, 0xffff
	s_delay_alu instid0(SALU_CYCLE_1) | instskip(SKIP_1) | instid1(VALU_DEP_1)
	v_mad_u64_u32 v[1:2], null, s15, s4, v[0:1]
	v_mov_b32_e32 v2, 0
	v_lshlrev_b64 v[0:1], 4, v[1:2]
	s_delay_alu instid0(VALU_DEP_1) | instskip(NEXT) | instid1(VALU_DEP_2)
	v_add_co_u32 v2, vcc_lo, s0, v0
	v_add_co_ci_u32_e32 v3, vcc_lo, s1, v1, vcc_lo
	s_movk_i32 s0, 0x65
	global_load_b64 v[4:5], v[2:3], off offset:8
.LBB141_1:                              ; =>This Inner Loop Header: Depth=1
	s_waitcnt vmcnt(0)
	v_dual_mov_b32 v2, v4 :: v_dual_mov_b32 v3, v5
	v_mov_b32_e32 v4, 0
	v_mov_b32_e32 v5, 0
	s_add_i32 s0, s0, -1
	s_delay_alu instid0(SALU_CYCLE_1)
	s_cmp_lg_u32 s0, 0
	s_cbranch_scc1 .LBB141_1
; %bb.2:
	v_add_co_u32 v0, vcc_lo, s2, v0
	v_add_co_ci_u32_e32 v1, vcc_lo, s3, v1, vcc_lo
	v_mov_b32_e32 v4, 0
	s_clause 0x1
	global_store_b32 v[0:1], v4, off
	global_store_b64 v[0:1], v[2:3], off offset:8
	s_nop 0
	s_sendmsg sendmsg(MSG_DEALLOC_VGPRS)
	s_endpgm
	.section	.rodata,"a",@progbits
	.p2align	6, 0x0
	.amdhsa_kernel _Z6kernelI9broadcastN6common11custom_typeIidLb0EEELj64ELj100EEvPKT0_PS4_S4_
		.amdhsa_group_segment_fixed_size 0
		.amdhsa_private_segment_fixed_size 0
		.amdhsa_kernarg_size 288
		.amdhsa_user_sgpr_count 15
		.amdhsa_user_sgpr_dispatch_ptr 0
		.amdhsa_user_sgpr_queue_ptr 0
		.amdhsa_user_sgpr_kernarg_segment_ptr 1
		.amdhsa_user_sgpr_dispatch_id 0
		.amdhsa_user_sgpr_private_segment_size 0
		.amdhsa_wavefront_size32 1
		.amdhsa_uses_dynamic_stack 0
		.amdhsa_enable_private_segment 0
		.amdhsa_system_sgpr_workgroup_id_x 1
		.amdhsa_system_sgpr_workgroup_id_y 0
		.amdhsa_system_sgpr_workgroup_id_z 0
		.amdhsa_system_sgpr_workgroup_info 0
		.amdhsa_system_vgpr_workitem_id 0
		.amdhsa_next_free_vgpr 6
		.amdhsa_next_free_sgpr 16
		.amdhsa_reserve_vcc 1
		.amdhsa_float_round_mode_32 0
		.amdhsa_float_round_mode_16_64 0
		.amdhsa_float_denorm_mode_32 3
		.amdhsa_float_denorm_mode_16_64 3
		.amdhsa_dx10_clamp 1
		.amdhsa_ieee_mode 1
		.amdhsa_fp16_overflow 0
		.amdhsa_workgroup_processor_mode 1
		.amdhsa_memory_ordered 1
		.amdhsa_forward_progress 0
		.amdhsa_shared_vgpr_count 0
		.amdhsa_exception_fp_ieee_invalid_op 0
		.amdhsa_exception_fp_denorm_src 0
		.amdhsa_exception_fp_ieee_div_zero 0
		.amdhsa_exception_fp_ieee_overflow 0
		.amdhsa_exception_fp_ieee_underflow 0
		.amdhsa_exception_fp_ieee_inexact 0
		.amdhsa_exception_int_div_zero 0
	.end_amdhsa_kernel
	.section	.text._Z6kernelI9broadcastN6common11custom_typeIidLb0EEELj64ELj100EEvPKT0_PS4_S4_,"axG",@progbits,_Z6kernelI9broadcastN6common11custom_typeIidLb0EEELj64ELj100EEvPKT0_PS4_S4_,comdat
.Lfunc_end141:
	.size	_Z6kernelI9broadcastN6common11custom_typeIidLb0EEELj64ELj100EEvPKT0_PS4_S4_, .Lfunc_end141-_Z6kernelI9broadcastN6common11custom_typeIidLb0EEELj64ELj100EEvPKT0_PS4_S4_
                                        ; -- End function
	.section	.AMDGPU.csdata,"",@progbits
; Kernel info:
; codeLenInByte = 168
; NumSgprs: 18
; NumVgprs: 6
; ScratchSize: 0
; MemoryBound: 0
; FloatMode: 240
; IeeeMode: 1
; LDSByteSize: 0 bytes/workgroup (compile time only)
; SGPRBlocks: 2
; VGPRBlocks: 0
; NumSGPRsForWavesPerEU: 18
; NumVGPRsForWavesPerEU: 6
; Occupancy: 16
; WaveLimiterHint : 0
; COMPUTE_PGM_RSRC2:SCRATCH_EN: 0
; COMPUTE_PGM_RSRC2:USER_SGPR: 15
; COMPUTE_PGM_RSRC2:TRAP_HANDLER: 0
; COMPUTE_PGM_RSRC2:TGID_X_EN: 1
; COMPUTE_PGM_RSRC2:TGID_Y_EN: 0
; COMPUTE_PGM_RSRC2:TGID_Z_EN: 0
; COMPUTE_PGM_RSRC2:TIDIG_COMP_CNT: 0
	.section	.text._Z6kernelI9broadcastN6common11custom_typeIidLb0EEELj32ELj100EEvPKT0_PS4_S4_,"axG",@progbits,_Z6kernelI9broadcastN6common11custom_typeIidLb0EEELj32ELj100EEvPKT0_PS4_S4_,comdat
	.protected	_Z6kernelI9broadcastN6common11custom_typeIidLb0EEELj32ELj100EEvPKT0_PS4_S4_ ; -- Begin function _Z6kernelI9broadcastN6common11custom_typeIidLb0EEELj32ELj100EEvPKT0_PS4_S4_
	.globl	_Z6kernelI9broadcastN6common11custom_typeIidLb0EEELj32ELj100EEvPKT0_PS4_S4_
	.p2align	8
	.type	_Z6kernelI9broadcastN6common11custom_typeIidLb0EEELj32ELj100EEvPKT0_PS4_S4_,@function
_Z6kernelI9broadcastN6common11custom_typeIidLb0EEELj32ELj100EEvPKT0_PS4_S4_: ; @_Z6kernelI9broadcastN6common11custom_typeIidLb0EEELj32ELj100EEvPKT0_PS4_S4_
; %bb.0:
	s_clause 0x1
	s_load_b32 s4, s[0:1], 0x2c
	s_load_b128 s[0:3], s[0:1], 0x0
	s_waitcnt lgkmcnt(0)
	s_and_b32 s4, s4, 0xffff
	s_delay_alu instid0(SALU_CYCLE_1) | instskip(SKIP_2) | instid1(VALU_DEP_1)
	v_mad_u64_u32 v[4:5], null, s15, s4, v[0:1]
	v_mov_b32_e32 v5, 0
	s_movk_i32 s4, 0x64
	v_lshlrev_b64 v[0:1], 4, v[4:5]
	v_bfe_u32 v4, v4, 5, 5
	s_delay_alu instid0(VALU_DEP_2) | instskip(NEXT) | instid1(VALU_DEP_3)
	v_add_co_u32 v2, vcc_lo, s0, v0
	v_add_co_ci_u32_e32 v3, vcc_lo, s1, v1, vcc_lo
	s_clause 0x1
	global_load_b32 v5, v[2:3], off
	global_load_b64 v[2:3], v[2:3], off offset:8
.LBB142_1:                              ; =>This Inner Loop Header: Depth=1
	v_readfirstlane_b32 s5, v4
	s_add_i32 s4, s4, -1
	s_delay_alu instid0(SALU_CYCLE_1) | instskip(SKIP_1) | instid1(VALU_DEP_1)
	s_cmp_lg_u32 s4, 0
	s_waitcnt vmcnt(0)
	v_readlane_b32 s0, v2, s5
	v_readlane_b32 s1, v3, s5
	v_readlane_b32 s5, v5, s5
	s_delay_alu instid0(VALU_DEP_2) | instskip(NEXT) | instid1(VALU_DEP_2)
	v_dual_mov_b32 v3, s1 :: v_dual_mov_b32 v2, s0
	v_mov_b32_e32 v5, s5
	s_cbranch_scc1 .LBB142_1
; %bb.2:
	v_add_co_u32 v0, vcc_lo, s2, v0
	v_add_co_ci_u32_e32 v1, vcc_lo, s3, v1, vcc_lo
	v_dual_mov_b32 v4, s5 :: v_dual_mov_b32 v3, s1
	v_mov_b32_e32 v2, s0
	s_clause 0x1
	global_store_b32 v[0:1], v4, off
	global_store_b64 v[0:1], v[2:3], off offset:8
	s_nop 0
	s_sendmsg sendmsg(MSG_DEALLOC_VGPRS)
	s_endpgm
	.section	.rodata,"a",@progbits
	.p2align	6, 0x0
	.amdhsa_kernel _Z6kernelI9broadcastN6common11custom_typeIidLb0EEELj32ELj100EEvPKT0_PS4_S4_
		.amdhsa_group_segment_fixed_size 0
		.amdhsa_private_segment_fixed_size 0
		.amdhsa_kernarg_size 288
		.amdhsa_user_sgpr_count 15
		.amdhsa_user_sgpr_dispatch_ptr 0
		.amdhsa_user_sgpr_queue_ptr 0
		.amdhsa_user_sgpr_kernarg_segment_ptr 1
		.amdhsa_user_sgpr_dispatch_id 0
		.amdhsa_user_sgpr_private_segment_size 0
		.amdhsa_wavefront_size32 1
		.amdhsa_uses_dynamic_stack 0
		.amdhsa_enable_private_segment 0
		.amdhsa_system_sgpr_workgroup_id_x 1
		.amdhsa_system_sgpr_workgroup_id_y 0
		.amdhsa_system_sgpr_workgroup_id_z 0
		.amdhsa_system_sgpr_workgroup_info 0
		.amdhsa_system_vgpr_workitem_id 0
		.amdhsa_next_free_vgpr 6
		.amdhsa_next_free_sgpr 16
		.amdhsa_reserve_vcc 1
		.amdhsa_float_round_mode_32 0
		.amdhsa_float_round_mode_16_64 0
		.amdhsa_float_denorm_mode_32 3
		.amdhsa_float_denorm_mode_16_64 3
		.amdhsa_dx10_clamp 1
		.amdhsa_ieee_mode 1
		.amdhsa_fp16_overflow 0
		.amdhsa_workgroup_processor_mode 1
		.amdhsa_memory_ordered 1
		.amdhsa_forward_progress 0
		.amdhsa_shared_vgpr_count 0
		.amdhsa_exception_fp_ieee_invalid_op 0
		.amdhsa_exception_fp_denorm_src 0
		.amdhsa_exception_fp_ieee_div_zero 0
		.amdhsa_exception_fp_ieee_overflow 0
		.amdhsa_exception_fp_ieee_underflow 0
		.amdhsa_exception_fp_ieee_inexact 0
		.amdhsa_exception_int_div_zero 0
	.end_amdhsa_kernel
	.section	.text._Z6kernelI9broadcastN6common11custom_typeIidLb0EEELj32ELj100EEvPKT0_PS4_S4_,"axG",@progbits,_Z6kernelI9broadcastN6common11custom_typeIidLb0EEELj32ELj100EEvPKT0_PS4_S4_,comdat
.Lfunc_end142:
	.size	_Z6kernelI9broadcastN6common11custom_typeIidLb0EEELj32ELj100EEvPKT0_PS4_S4_, .Lfunc_end142-_Z6kernelI9broadcastN6common11custom_typeIidLb0EEELj32ELj100EEvPKT0_PS4_S4_
                                        ; -- End function
	.section	.AMDGPU.csdata,"",@progbits
; Kernel info:
; codeLenInByte = 224
; NumSgprs: 18
; NumVgprs: 6
; ScratchSize: 0
; MemoryBound: 0
; FloatMode: 240
; IeeeMode: 1
; LDSByteSize: 0 bytes/workgroup (compile time only)
; SGPRBlocks: 2
; VGPRBlocks: 0
; NumSGPRsForWavesPerEU: 18
; NumVGPRsForWavesPerEU: 6
; Occupancy: 16
; WaveLimiterHint : 0
; COMPUTE_PGM_RSRC2:SCRATCH_EN: 0
; COMPUTE_PGM_RSRC2:USER_SGPR: 15
; COMPUTE_PGM_RSRC2:TRAP_HANDLER: 0
; COMPUTE_PGM_RSRC2:TGID_X_EN: 1
; COMPUTE_PGM_RSRC2:TGID_Y_EN: 0
; COMPUTE_PGM_RSRC2:TGID_Z_EN: 0
; COMPUTE_PGM_RSRC2:TIDIG_COMP_CNT: 0
	.section	.text._Z6kernelI9broadcastN6common11custom_typeIidLb0EEELj16ELj100EEvPKT0_PS4_S4_,"axG",@progbits,_Z6kernelI9broadcastN6common11custom_typeIidLb0EEELj16ELj100EEvPKT0_PS4_S4_,comdat
	.protected	_Z6kernelI9broadcastN6common11custom_typeIidLb0EEELj16ELj100EEvPKT0_PS4_S4_ ; -- Begin function _Z6kernelI9broadcastN6common11custom_typeIidLb0EEELj16ELj100EEvPKT0_PS4_S4_
	.globl	_Z6kernelI9broadcastN6common11custom_typeIidLb0EEELj16ELj100EEvPKT0_PS4_S4_
	.p2align	8
	.type	_Z6kernelI9broadcastN6common11custom_typeIidLb0EEELj16ELj100EEvPKT0_PS4_S4_,@function
_Z6kernelI9broadcastN6common11custom_typeIidLb0EEELj16ELj100EEvPKT0_PS4_S4_: ; @_Z6kernelI9broadcastN6common11custom_typeIidLb0EEELj16ELj100EEvPKT0_PS4_S4_
; %bb.0:
	s_clause 0x1
	s_load_b32 s4, s[0:1], 0x2c
	s_load_b128 s[0:3], s[0:1], 0x0
	s_waitcnt lgkmcnt(0)
	s_and_b32 s4, s4, 0xffff
	s_delay_alu instid0(SALU_CYCLE_1) | instskip(SKIP_1) | instid1(VALU_DEP_1)
	v_mad_u64_u32 v[5:6], null, s15, s4, v[0:1]
	v_mov_b32_e32 v6, 0
	v_lshlrev_b64 v[0:1], 4, v[5:6]
	v_mbcnt_lo_u32_b32 v6, -1, 0
	v_lshrrev_b32_e32 v5, 4, v5
	s_delay_alu instid0(VALU_DEP_2) | instskip(NEXT) | instid1(VALU_DEP_4)
	v_and_b32_e32 v6, 16, v6
	v_add_co_u32 v2, vcc_lo, s0, v0
	v_add_co_ci_u32_e32 v3, vcc_lo, s1, v1, vcc_lo
	s_delay_alu instid0(VALU_DEP_3)
	v_and_or_b32 v5, v5, 15, v6
	s_movk_i32 s0, 0x64
	s_clause 0x1
	global_load_b32 v4, v[2:3], off
	global_load_b64 v[2:3], v[2:3], off offset:8
	v_lshlrev_b32_e32 v5, 2, v5
.LBB143_1:                              ; =>This Inner Loop Header: Depth=1
	s_waitcnt vmcnt(1) lgkmcnt(2)
	ds_bpermute_b32 v4, v5, v4
	s_waitcnt vmcnt(0) lgkmcnt(2)
	ds_bpermute_b32 v2, v5, v2
	s_waitcnt lgkmcnt(2)
	ds_bpermute_b32 v3, v5, v3
	s_add_i32 s0, s0, -1
	s_delay_alu instid0(SALU_CYCLE_1)
	s_cmp_lg_u32 s0, 0
	s_cbranch_scc1 .LBB143_1
; %bb.2:
	v_add_co_u32 v0, vcc_lo, s2, v0
	v_add_co_ci_u32_e32 v1, vcc_lo, s3, v1, vcc_lo
	s_waitcnt lgkmcnt(2)
	global_store_b32 v[0:1], v4, off
	s_waitcnt lgkmcnt(0)
	global_store_b64 v[0:1], v[2:3], off offset:8
	s_nop 0
	s_sendmsg sendmsg(MSG_DEALLOC_VGPRS)
	s_endpgm
	.section	.rodata,"a",@progbits
	.p2align	6, 0x0
	.amdhsa_kernel _Z6kernelI9broadcastN6common11custom_typeIidLb0EEELj16ELj100EEvPKT0_PS4_S4_
		.amdhsa_group_segment_fixed_size 0
		.amdhsa_private_segment_fixed_size 0
		.amdhsa_kernarg_size 288
		.amdhsa_user_sgpr_count 15
		.amdhsa_user_sgpr_dispatch_ptr 0
		.amdhsa_user_sgpr_queue_ptr 0
		.amdhsa_user_sgpr_kernarg_segment_ptr 1
		.amdhsa_user_sgpr_dispatch_id 0
		.amdhsa_user_sgpr_private_segment_size 0
		.amdhsa_wavefront_size32 1
		.amdhsa_uses_dynamic_stack 0
		.amdhsa_enable_private_segment 0
		.amdhsa_system_sgpr_workgroup_id_x 1
		.amdhsa_system_sgpr_workgroup_id_y 0
		.amdhsa_system_sgpr_workgroup_id_z 0
		.amdhsa_system_sgpr_workgroup_info 0
		.amdhsa_system_vgpr_workitem_id 0
		.amdhsa_next_free_vgpr 7
		.amdhsa_next_free_sgpr 16
		.amdhsa_reserve_vcc 1
		.amdhsa_float_round_mode_32 0
		.amdhsa_float_round_mode_16_64 0
		.amdhsa_float_denorm_mode_32 3
		.amdhsa_float_denorm_mode_16_64 3
		.amdhsa_dx10_clamp 1
		.amdhsa_ieee_mode 1
		.amdhsa_fp16_overflow 0
		.amdhsa_workgroup_processor_mode 1
		.amdhsa_memory_ordered 1
		.amdhsa_forward_progress 0
		.amdhsa_shared_vgpr_count 0
		.amdhsa_exception_fp_ieee_invalid_op 0
		.amdhsa_exception_fp_denorm_src 0
		.amdhsa_exception_fp_ieee_div_zero 0
		.amdhsa_exception_fp_ieee_overflow 0
		.amdhsa_exception_fp_ieee_underflow 0
		.amdhsa_exception_fp_ieee_inexact 0
		.amdhsa_exception_int_div_zero 0
	.end_amdhsa_kernel
	.section	.text._Z6kernelI9broadcastN6common11custom_typeIidLb0EEELj16ELj100EEvPKT0_PS4_S4_,"axG",@progbits,_Z6kernelI9broadcastN6common11custom_typeIidLb0EEELj16ELj100EEvPKT0_PS4_S4_,comdat
.Lfunc_end143:
	.size	_Z6kernelI9broadcastN6common11custom_typeIidLb0EEELj16ELj100EEvPKT0_PS4_S4_, .Lfunc_end143-_Z6kernelI9broadcastN6common11custom_typeIidLb0EEELj16ELj100EEvPKT0_PS4_S4_
                                        ; -- End function
	.section	.AMDGPU.csdata,"",@progbits
; Kernel info:
; codeLenInByte = 228
; NumSgprs: 18
; NumVgprs: 7
; ScratchSize: 0
; MemoryBound: 0
; FloatMode: 240
; IeeeMode: 1
; LDSByteSize: 0 bytes/workgroup (compile time only)
; SGPRBlocks: 2
; VGPRBlocks: 0
; NumSGPRsForWavesPerEU: 18
; NumVGPRsForWavesPerEU: 7
; Occupancy: 16
; WaveLimiterHint : 0
; COMPUTE_PGM_RSRC2:SCRATCH_EN: 0
; COMPUTE_PGM_RSRC2:USER_SGPR: 15
; COMPUTE_PGM_RSRC2:TRAP_HANDLER: 0
; COMPUTE_PGM_RSRC2:TGID_X_EN: 1
; COMPUTE_PGM_RSRC2:TGID_Y_EN: 0
; COMPUTE_PGM_RSRC2:TGID_Z_EN: 0
; COMPUTE_PGM_RSRC2:TIDIG_COMP_CNT: 0
	.section	.text._Z6kernelI9broadcastnLj64ELj100EEvPKT0_PS1_S1_,"axG",@progbits,_Z6kernelI9broadcastnLj64ELj100EEvPKT0_PS1_S1_,comdat
	.protected	_Z6kernelI9broadcastnLj64ELj100EEvPKT0_PS1_S1_ ; -- Begin function _Z6kernelI9broadcastnLj64ELj100EEvPKT0_PS1_S1_
	.globl	_Z6kernelI9broadcastnLj64ELj100EEvPKT0_PS1_S1_
	.p2align	8
	.type	_Z6kernelI9broadcastnLj64ELj100EEvPKT0_PS1_S1_,@function
_Z6kernelI9broadcastnLj64ELj100EEvPKT0_PS1_S1_: ; @_Z6kernelI9broadcastnLj64ELj100EEvPKT0_PS1_S1_
; %bb.0:
	s_clause 0x1
	s_load_b32 s2, s[0:1], 0x2c
	s_load_b64 s[0:1], s[0:1], 0x8
	s_waitcnt lgkmcnt(0)
	s_and_b32 s2, s2, 0xffff
	s_delay_alu instid0(SALU_CYCLE_1) | instskip(SKIP_1) | instid1(VALU_DEP_1)
	v_mad_u64_u32 v[1:2], null, s15, s2, v[0:1]
	v_mov_b32_e32 v2, 0
	v_mov_b32_e32 v3, v2
	s_delay_alu instid0(VALU_DEP_3) | instskip(SKIP_1) | instid1(VALU_DEP_2)
	v_lshlrev_b64 v[4:5], 4, v[1:2]
	v_mov_b32_e32 v1, v2
	v_add_co_u32 v6, vcc_lo, s0, v4
	s_delay_alu instid0(VALU_DEP_3)
	v_add_co_ci_u32_e32 v7, vcc_lo, s1, v5, vcc_lo
	v_mov_b32_e32 v4, v2
	global_store_b128 v[6:7], v[1:4], off
	s_nop 0
	s_sendmsg sendmsg(MSG_DEALLOC_VGPRS)
	s_endpgm
	.section	.rodata,"a",@progbits
	.p2align	6, 0x0
	.amdhsa_kernel _Z6kernelI9broadcastnLj64ELj100EEvPKT0_PS1_S1_
		.amdhsa_group_segment_fixed_size 0
		.amdhsa_private_segment_fixed_size 0
		.amdhsa_kernarg_size 288
		.amdhsa_user_sgpr_count 15
		.amdhsa_user_sgpr_dispatch_ptr 0
		.amdhsa_user_sgpr_queue_ptr 0
		.amdhsa_user_sgpr_kernarg_segment_ptr 1
		.amdhsa_user_sgpr_dispatch_id 0
		.amdhsa_user_sgpr_private_segment_size 0
		.amdhsa_wavefront_size32 1
		.amdhsa_uses_dynamic_stack 0
		.amdhsa_enable_private_segment 0
		.amdhsa_system_sgpr_workgroup_id_x 1
		.amdhsa_system_sgpr_workgroup_id_y 0
		.amdhsa_system_sgpr_workgroup_id_z 0
		.amdhsa_system_sgpr_workgroup_info 0
		.amdhsa_system_vgpr_workitem_id 0
		.amdhsa_next_free_vgpr 8
		.amdhsa_next_free_sgpr 16
		.amdhsa_reserve_vcc 1
		.amdhsa_float_round_mode_32 0
		.amdhsa_float_round_mode_16_64 0
		.amdhsa_float_denorm_mode_32 3
		.amdhsa_float_denorm_mode_16_64 3
		.amdhsa_dx10_clamp 1
		.amdhsa_ieee_mode 1
		.amdhsa_fp16_overflow 0
		.amdhsa_workgroup_processor_mode 1
		.amdhsa_memory_ordered 1
		.amdhsa_forward_progress 0
		.amdhsa_shared_vgpr_count 0
		.amdhsa_exception_fp_ieee_invalid_op 0
		.amdhsa_exception_fp_denorm_src 0
		.amdhsa_exception_fp_ieee_div_zero 0
		.amdhsa_exception_fp_ieee_overflow 0
		.amdhsa_exception_fp_ieee_underflow 0
		.amdhsa_exception_fp_ieee_inexact 0
		.amdhsa_exception_int_div_zero 0
	.end_amdhsa_kernel
	.section	.text._Z6kernelI9broadcastnLj64ELj100EEvPKT0_PS1_S1_,"axG",@progbits,_Z6kernelI9broadcastnLj64ELj100EEvPKT0_PS1_S1_,comdat
.Lfunc_end144:
	.size	_Z6kernelI9broadcastnLj64ELj100EEvPKT0_PS1_S1_, .Lfunc_end144-_Z6kernelI9broadcastnLj64ELj100EEvPKT0_PS1_S1_
                                        ; -- End function
	.section	.AMDGPU.csdata,"",@progbits
; Kernel info:
; codeLenInByte = 108
; NumSgprs: 18
; NumVgprs: 8
; ScratchSize: 0
; MemoryBound: 0
; FloatMode: 240
; IeeeMode: 1
; LDSByteSize: 0 bytes/workgroup (compile time only)
; SGPRBlocks: 2
; VGPRBlocks: 0
; NumSGPRsForWavesPerEU: 18
; NumVGPRsForWavesPerEU: 8
; Occupancy: 16
; WaveLimiterHint : 0
; COMPUTE_PGM_RSRC2:SCRATCH_EN: 0
; COMPUTE_PGM_RSRC2:USER_SGPR: 15
; COMPUTE_PGM_RSRC2:TRAP_HANDLER: 0
; COMPUTE_PGM_RSRC2:TGID_X_EN: 1
; COMPUTE_PGM_RSRC2:TGID_Y_EN: 0
; COMPUTE_PGM_RSRC2:TGID_Z_EN: 0
; COMPUTE_PGM_RSRC2:TIDIG_COMP_CNT: 0
	.section	.text._Z6kernelI9broadcastnLj32ELj100EEvPKT0_PS1_S1_,"axG",@progbits,_Z6kernelI9broadcastnLj32ELj100EEvPKT0_PS1_S1_,comdat
	.protected	_Z6kernelI9broadcastnLj32ELj100EEvPKT0_PS1_S1_ ; -- Begin function _Z6kernelI9broadcastnLj32ELj100EEvPKT0_PS1_S1_
	.globl	_Z6kernelI9broadcastnLj32ELj100EEvPKT0_PS1_S1_
	.p2align	8
	.type	_Z6kernelI9broadcastnLj32ELj100EEvPKT0_PS1_S1_,@function
_Z6kernelI9broadcastnLj32ELj100EEvPKT0_PS1_S1_: ; @_Z6kernelI9broadcastnLj32ELj100EEvPKT0_PS1_S1_
; %bb.0:
	s_clause 0x1
	s_load_b32 s4, s[0:1], 0x2c
	s_load_b128 s[0:3], s[0:1], 0x0
	s_waitcnt lgkmcnt(0)
	s_and_b32 s4, s4, 0xffff
	s_delay_alu instid0(SALU_CYCLE_1) | instskip(SKIP_1) | instid1(VALU_DEP_1)
	v_mad_u64_u32 v[6:7], null, s15, s4, v[0:1]
	v_mov_b32_e32 v7, 0
	v_lshlrev_b64 v[4:5], 4, v[6:7]
	v_bfe_u32 v6, v6, 5, 5
	s_delay_alu instid0(VALU_DEP_2) | instskip(NEXT) | instid1(VALU_DEP_3)
	v_add_co_u32 v0, vcc_lo, s0, v4
	v_add_co_ci_u32_e32 v1, vcc_lo, s1, v5, vcc_lo
	s_movk_i32 s0, 0x64
	global_load_b128 v[0:3], v[0:1], off
.LBB145_1:                              ; =>This Inner Loop Header: Depth=1
	v_readfirstlane_b32 s6, v6
	s_add_i32 s0, s0, -1
	s_delay_alu instid0(SALU_CYCLE_1) | instskip(SKIP_1) | instid1(VALU_DEP_1)
	s_cmp_lg_u32 s0, 0
	s_waitcnt vmcnt(0)
	v_readlane_b32 s1, v0, s6
	v_readlane_b32 s4, v1, s6
	v_readlane_b32 s5, v2, s6
	v_readlane_b32 s6, v3, s6
	s_delay_alu instid0(VALU_DEP_3) | instskip(NEXT) | instid1(VALU_DEP_2)
	v_dual_mov_b32 v0, s1 :: v_dual_mov_b32 v1, s4
	v_dual_mov_b32 v2, s5 :: v_dual_mov_b32 v3, s6
	s_cbranch_scc1 .LBB145_1
; %bb.2:
	v_add_co_u32 v4, vcc_lo, s2, v4
	v_add_co_ci_u32_e32 v5, vcc_lo, s3, v5, vcc_lo
	v_dual_mov_b32 v0, s1 :: v_dual_mov_b32 v1, s4
	v_dual_mov_b32 v2, s5 :: v_dual_mov_b32 v3, s6
	global_store_b128 v[4:5], v[0:3], off
	s_nop 0
	s_sendmsg sendmsg(MSG_DEALLOC_VGPRS)
	s_endpgm
	.section	.rodata,"a",@progbits
	.p2align	6, 0x0
	.amdhsa_kernel _Z6kernelI9broadcastnLj32ELj100EEvPKT0_PS1_S1_
		.amdhsa_group_segment_fixed_size 0
		.amdhsa_private_segment_fixed_size 0
		.amdhsa_kernarg_size 288
		.amdhsa_user_sgpr_count 15
		.amdhsa_user_sgpr_dispatch_ptr 0
		.amdhsa_user_sgpr_queue_ptr 0
		.amdhsa_user_sgpr_kernarg_segment_ptr 1
		.amdhsa_user_sgpr_dispatch_id 0
		.amdhsa_user_sgpr_private_segment_size 0
		.amdhsa_wavefront_size32 1
		.amdhsa_uses_dynamic_stack 0
		.amdhsa_enable_private_segment 0
		.amdhsa_system_sgpr_workgroup_id_x 1
		.amdhsa_system_sgpr_workgroup_id_y 0
		.amdhsa_system_sgpr_workgroup_id_z 0
		.amdhsa_system_sgpr_workgroup_info 0
		.amdhsa_system_vgpr_workitem_id 0
		.amdhsa_next_free_vgpr 8
		.amdhsa_next_free_sgpr 16
		.amdhsa_reserve_vcc 1
		.amdhsa_float_round_mode_32 0
		.amdhsa_float_round_mode_16_64 0
		.amdhsa_float_denorm_mode_32 3
		.amdhsa_float_denorm_mode_16_64 3
		.amdhsa_dx10_clamp 1
		.amdhsa_ieee_mode 1
		.amdhsa_fp16_overflow 0
		.amdhsa_workgroup_processor_mode 1
		.amdhsa_memory_ordered 1
		.amdhsa_forward_progress 0
		.amdhsa_shared_vgpr_count 0
		.amdhsa_exception_fp_ieee_invalid_op 0
		.amdhsa_exception_fp_denorm_src 0
		.amdhsa_exception_fp_ieee_div_zero 0
		.amdhsa_exception_fp_ieee_overflow 0
		.amdhsa_exception_fp_ieee_underflow 0
		.amdhsa_exception_fp_ieee_inexact 0
		.amdhsa_exception_int_div_zero 0
	.end_amdhsa_kernel
	.section	.text._Z6kernelI9broadcastnLj32ELj100EEvPKT0_PS1_S1_,"axG",@progbits,_Z6kernelI9broadcastnLj32ELj100EEvPKT0_PS1_S1_,comdat
.Lfunc_end145:
	.size	_Z6kernelI9broadcastnLj32ELj100EEvPKT0_PS1_S1_, .Lfunc_end145-_Z6kernelI9broadcastnLj32ELj100EEvPKT0_PS1_S1_
                                        ; -- End function
	.section	.AMDGPU.csdata,"",@progbits
; Kernel info:
; codeLenInByte = 216
; NumSgprs: 18
; NumVgprs: 8
; ScratchSize: 0
; MemoryBound: 0
; FloatMode: 240
; IeeeMode: 1
; LDSByteSize: 0 bytes/workgroup (compile time only)
; SGPRBlocks: 2
; VGPRBlocks: 0
; NumSGPRsForWavesPerEU: 18
; NumVGPRsForWavesPerEU: 8
; Occupancy: 16
; WaveLimiterHint : 0
; COMPUTE_PGM_RSRC2:SCRATCH_EN: 0
; COMPUTE_PGM_RSRC2:USER_SGPR: 15
; COMPUTE_PGM_RSRC2:TRAP_HANDLER: 0
; COMPUTE_PGM_RSRC2:TGID_X_EN: 1
; COMPUTE_PGM_RSRC2:TGID_Y_EN: 0
; COMPUTE_PGM_RSRC2:TGID_Z_EN: 0
; COMPUTE_PGM_RSRC2:TIDIG_COMP_CNT: 0
	.section	.text._Z6kernelI9broadcastnLj16ELj100EEvPKT0_PS1_S1_,"axG",@progbits,_Z6kernelI9broadcastnLj16ELj100EEvPKT0_PS1_S1_,comdat
	.protected	_Z6kernelI9broadcastnLj16ELj100EEvPKT0_PS1_S1_ ; -- Begin function _Z6kernelI9broadcastnLj16ELj100EEvPKT0_PS1_S1_
	.globl	_Z6kernelI9broadcastnLj16ELj100EEvPKT0_PS1_S1_
	.p2align	8
	.type	_Z6kernelI9broadcastnLj16ELj100EEvPKT0_PS1_S1_,@function
_Z6kernelI9broadcastnLj16ELj100EEvPKT0_PS1_S1_: ; @_Z6kernelI9broadcastnLj16ELj100EEvPKT0_PS1_S1_
; %bb.0:
	s_clause 0x1
	s_load_b32 s4, s[0:1], 0x2c
	s_load_b128 s[0:3], s[0:1], 0x0
	s_waitcnt lgkmcnt(0)
	s_and_b32 s4, s4, 0xffff
	s_delay_alu instid0(SALU_CYCLE_1) | instskip(SKIP_1) | instid1(VALU_DEP_1)
	v_mad_u64_u32 v[6:7], null, s15, s4, v[0:1]
	v_mov_b32_e32 v7, 0
	v_lshlrev_b64 v[4:5], 4, v[6:7]
	v_mbcnt_lo_u32_b32 v7, -1, 0
	v_lshrrev_b32_e32 v6, 4, v6
	s_delay_alu instid0(VALU_DEP_2) | instskip(NEXT) | instid1(VALU_DEP_4)
	v_and_b32_e32 v7, 16, v7
	v_add_co_u32 v0, vcc_lo, s0, v4
	v_add_co_ci_u32_e32 v1, vcc_lo, s1, v5, vcc_lo
	s_delay_alu instid0(VALU_DEP_3)
	v_and_or_b32 v6, v6, 15, v7
	s_movk_i32 s0, 0x64
	global_load_b128 v[0:3], v[0:1], off
	v_lshlrev_b32_e32 v6, 2, v6
.LBB146_1:                              ; =>This Inner Loop Header: Depth=1
	s_waitcnt vmcnt(0) lgkmcnt(3)
	ds_bpermute_b32 v0, v6, v0
	s_waitcnt lgkmcnt(3)
	ds_bpermute_b32 v1, v6, v1
	s_waitcnt lgkmcnt(3)
	;; [unrolled: 2-line block ×3, first 2 shown]
	ds_bpermute_b32 v3, v6, v3
	s_add_i32 s0, s0, -1
	s_delay_alu instid0(SALU_CYCLE_1)
	s_cmp_lg_u32 s0, 0
	s_cbranch_scc1 .LBB146_1
; %bb.2:
	v_add_co_u32 v4, vcc_lo, s2, v4
	v_add_co_ci_u32_e32 v5, vcc_lo, s3, v5, vcc_lo
	s_waitcnt lgkmcnt(0)
	global_store_b128 v[4:5], v[0:3], off
	s_nop 0
	s_sendmsg sendmsg(MSG_DEALLOC_VGPRS)
	s_endpgm
	.section	.rodata,"a",@progbits
	.p2align	6, 0x0
	.amdhsa_kernel _Z6kernelI9broadcastnLj16ELj100EEvPKT0_PS1_S1_
		.amdhsa_group_segment_fixed_size 0
		.amdhsa_private_segment_fixed_size 0
		.amdhsa_kernarg_size 288
		.amdhsa_user_sgpr_count 15
		.amdhsa_user_sgpr_dispatch_ptr 0
		.amdhsa_user_sgpr_queue_ptr 0
		.amdhsa_user_sgpr_kernarg_segment_ptr 1
		.amdhsa_user_sgpr_dispatch_id 0
		.amdhsa_user_sgpr_private_segment_size 0
		.amdhsa_wavefront_size32 1
		.amdhsa_uses_dynamic_stack 0
		.amdhsa_enable_private_segment 0
		.amdhsa_system_sgpr_workgroup_id_x 1
		.amdhsa_system_sgpr_workgroup_id_y 0
		.amdhsa_system_sgpr_workgroup_id_z 0
		.amdhsa_system_sgpr_workgroup_info 0
		.amdhsa_system_vgpr_workitem_id 0
		.amdhsa_next_free_vgpr 8
		.amdhsa_next_free_sgpr 16
		.amdhsa_reserve_vcc 1
		.amdhsa_float_round_mode_32 0
		.amdhsa_float_round_mode_16_64 0
		.amdhsa_float_denorm_mode_32 3
		.amdhsa_float_denorm_mode_16_64 3
		.amdhsa_dx10_clamp 1
		.amdhsa_ieee_mode 1
		.amdhsa_fp16_overflow 0
		.amdhsa_workgroup_processor_mode 1
		.amdhsa_memory_ordered 1
		.amdhsa_forward_progress 0
		.amdhsa_shared_vgpr_count 0
		.amdhsa_exception_fp_ieee_invalid_op 0
		.amdhsa_exception_fp_denorm_src 0
		.amdhsa_exception_fp_ieee_div_zero 0
		.amdhsa_exception_fp_ieee_overflow 0
		.amdhsa_exception_fp_ieee_underflow 0
		.amdhsa_exception_fp_ieee_inexact 0
		.amdhsa_exception_int_div_zero 0
	.end_amdhsa_kernel
	.section	.text._Z6kernelI9broadcastnLj16ELj100EEvPKT0_PS1_S1_,"axG",@progbits,_Z6kernelI9broadcastnLj16ELj100EEvPKT0_PS1_S1_,comdat
.Lfunc_end146:
	.size	_Z6kernelI9broadcastnLj16ELj100EEvPKT0_PS1_S1_, .Lfunc_end146-_Z6kernelI9broadcastnLj16ELj100EEvPKT0_PS1_S1_
                                        ; -- End function
	.section	.AMDGPU.csdata,"",@progbits
; Kernel info:
; codeLenInByte = 216
; NumSgprs: 18
; NumVgprs: 8
; ScratchSize: 0
; MemoryBound: 0
; FloatMode: 240
; IeeeMode: 1
; LDSByteSize: 0 bytes/workgroup (compile time only)
; SGPRBlocks: 2
; VGPRBlocks: 0
; NumSGPRsForWavesPerEU: 18
; NumVGPRsForWavesPerEU: 8
; Occupancy: 16
; WaveLimiterHint : 0
; COMPUTE_PGM_RSRC2:SCRATCH_EN: 0
; COMPUTE_PGM_RSRC2:USER_SGPR: 15
; COMPUTE_PGM_RSRC2:TRAP_HANDLER: 0
; COMPUTE_PGM_RSRC2:TGID_X_EN: 1
; COMPUTE_PGM_RSRC2:TGID_Y_EN: 0
; COMPUTE_PGM_RSRC2:TGID_Z_EN: 0
; COMPUTE_PGM_RSRC2:TIDIG_COMP_CNT: 0
	.section	.text._Z6kernelI9broadcastoLj64ELj100EEvPKT0_PS1_S1_,"axG",@progbits,_Z6kernelI9broadcastoLj64ELj100EEvPKT0_PS1_S1_,comdat
	.protected	_Z6kernelI9broadcastoLj64ELj100EEvPKT0_PS1_S1_ ; -- Begin function _Z6kernelI9broadcastoLj64ELj100EEvPKT0_PS1_S1_
	.globl	_Z6kernelI9broadcastoLj64ELj100EEvPKT0_PS1_S1_
	.p2align	8
	.type	_Z6kernelI9broadcastoLj64ELj100EEvPKT0_PS1_S1_,@function
_Z6kernelI9broadcastoLj64ELj100EEvPKT0_PS1_S1_: ; @_Z6kernelI9broadcastoLj64ELj100EEvPKT0_PS1_S1_
; %bb.0:
	s_clause 0x1
	s_load_b32 s2, s[0:1], 0x2c
	s_load_b64 s[0:1], s[0:1], 0x8
	s_waitcnt lgkmcnt(0)
	s_and_b32 s2, s2, 0xffff
	s_delay_alu instid0(SALU_CYCLE_1) | instskip(SKIP_1) | instid1(VALU_DEP_1)
	v_mad_u64_u32 v[1:2], null, s15, s2, v[0:1]
	v_mov_b32_e32 v2, 0
	v_mov_b32_e32 v3, v2
	s_delay_alu instid0(VALU_DEP_3) | instskip(SKIP_1) | instid1(VALU_DEP_2)
	v_lshlrev_b64 v[4:5], 4, v[1:2]
	v_mov_b32_e32 v1, v2
	v_add_co_u32 v6, vcc_lo, s0, v4
	s_delay_alu instid0(VALU_DEP_3)
	v_add_co_ci_u32_e32 v7, vcc_lo, s1, v5, vcc_lo
	v_mov_b32_e32 v4, v2
	global_store_b128 v[6:7], v[1:4], off
	s_nop 0
	s_sendmsg sendmsg(MSG_DEALLOC_VGPRS)
	s_endpgm
	.section	.rodata,"a",@progbits
	.p2align	6, 0x0
	.amdhsa_kernel _Z6kernelI9broadcastoLj64ELj100EEvPKT0_PS1_S1_
		.amdhsa_group_segment_fixed_size 0
		.amdhsa_private_segment_fixed_size 0
		.amdhsa_kernarg_size 288
		.amdhsa_user_sgpr_count 15
		.amdhsa_user_sgpr_dispatch_ptr 0
		.amdhsa_user_sgpr_queue_ptr 0
		.amdhsa_user_sgpr_kernarg_segment_ptr 1
		.amdhsa_user_sgpr_dispatch_id 0
		.amdhsa_user_sgpr_private_segment_size 0
		.amdhsa_wavefront_size32 1
		.amdhsa_uses_dynamic_stack 0
		.amdhsa_enable_private_segment 0
		.amdhsa_system_sgpr_workgroup_id_x 1
		.amdhsa_system_sgpr_workgroup_id_y 0
		.amdhsa_system_sgpr_workgroup_id_z 0
		.amdhsa_system_sgpr_workgroup_info 0
		.amdhsa_system_vgpr_workitem_id 0
		.amdhsa_next_free_vgpr 8
		.amdhsa_next_free_sgpr 16
		.amdhsa_reserve_vcc 1
		.amdhsa_float_round_mode_32 0
		.amdhsa_float_round_mode_16_64 0
		.amdhsa_float_denorm_mode_32 3
		.amdhsa_float_denorm_mode_16_64 3
		.amdhsa_dx10_clamp 1
		.amdhsa_ieee_mode 1
		.amdhsa_fp16_overflow 0
		.amdhsa_workgroup_processor_mode 1
		.amdhsa_memory_ordered 1
		.amdhsa_forward_progress 0
		.amdhsa_shared_vgpr_count 0
		.amdhsa_exception_fp_ieee_invalid_op 0
		.amdhsa_exception_fp_denorm_src 0
		.amdhsa_exception_fp_ieee_div_zero 0
		.amdhsa_exception_fp_ieee_overflow 0
		.amdhsa_exception_fp_ieee_underflow 0
		.amdhsa_exception_fp_ieee_inexact 0
		.amdhsa_exception_int_div_zero 0
	.end_amdhsa_kernel
	.section	.text._Z6kernelI9broadcastoLj64ELj100EEvPKT0_PS1_S1_,"axG",@progbits,_Z6kernelI9broadcastoLj64ELj100EEvPKT0_PS1_S1_,comdat
.Lfunc_end147:
	.size	_Z6kernelI9broadcastoLj64ELj100EEvPKT0_PS1_S1_, .Lfunc_end147-_Z6kernelI9broadcastoLj64ELj100EEvPKT0_PS1_S1_
                                        ; -- End function
	.section	.AMDGPU.csdata,"",@progbits
; Kernel info:
; codeLenInByte = 108
; NumSgprs: 18
; NumVgprs: 8
; ScratchSize: 0
; MemoryBound: 0
; FloatMode: 240
; IeeeMode: 1
; LDSByteSize: 0 bytes/workgroup (compile time only)
; SGPRBlocks: 2
; VGPRBlocks: 0
; NumSGPRsForWavesPerEU: 18
; NumVGPRsForWavesPerEU: 8
; Occupancy: 16
; WaveLimiterHint : 0
; COMPUTE_PGM_RSRC2:SCRATCH_EN: 0
; COMPUTE_PGM_RSRC2:USER_SGPR: 15
; COMPUTE_PGM_RSRC2:TRAP_HANDLER: 0
; COMPUTE_PGM_RSRC2:TGID_X_EN: 1
; COMPUTE_PGM_RSRC2:TGID_Y_EN: 0
; COMPUTE_PGM_RSRC2:TGID_Z_EN: 0
; COMPUTE_PGM_RSRC2:TIDIG_COMP_CNT: 0
	.section	.text._Z6kernelI9broadcastoLj32ELj100EEvPKT0_PS1_S1_,"axG",@progbits,_Z6kernelI9broadcastoLj32ELj100EEvPKT0_PS1_S1_,comdat
	.protected	_Z6kernelI9broadcastoLj32ELj100EEvPKT0_PS1_S1_ ; -- Begin function _Z6kernelI9broadcastoLj32ELj100EEvPKT0_PS1_S1_
	.globl	_Z6kernelI9broadcastoLj32ELj100EEvPKT0_PS1_S1_
	.p2align	8
	.type	_Z6kernelI9broadcastoLj32ELj100EEvPKT0_PS1_S1_,@function
_Z6kernelI9broadcastoLj32ELj100EEvPKT0_PS1_S1_: ; @_Z6kernelI9broadcastoLj32ELj100EEvPKT0_PS1_S1_
; %bb.0:
	s_clause 0x1
	s_load_b32 s4, s[0:1], 0x2c
	s_load_b128 s[0:3], s[0:1], 0x0
	s_waitcnt lgkmcnt(0)
	s_and_b32 s4, s4, 0xffff
	s_delay_alu instid0(SALU_CYCLE_1) | instskip(SKIP_1) | instid1(VALU_DEP_1)
	v_mad_u64_u32 v[6:7], null, s15, s4, v[0:1]
	v_mov_b32_e32 v7, 0
	v_lshlrev_b64 v[4:5], 4, v[6:7]
	v_bfe_u32 v6, v6, 5, 5
	s_delay_alu instid0(VALU_DEP_2) | instskip(NEXT) | instid1(VALU_DEP_3)
	v_add_co_u32 v0, vcc_lo, s0, v4
	v_add_co_ci_u32_e32 v1, vcc_lo, s1, v5, vcc_lo
	s_movk_i32 s0, 0x64
	global_load_b128 v[0:3], v[0:1], off
.LBB148_1:                              ; =>This Inner Loop Header: Depth=1
	v_readfirstlane_b32 s6, v6
	s_add_i32 s0, s0, -1
	s_delay_alu instid0(SALU_CYCLE_1) | instskip(SKIP_1) | instid1(VALU_DEP_1)
	s_cmp_lg_u32 s0, 0
	s_waitcnt vmcnt(0)
	v_readlane_b32 s1, v0, s6
	v_readlane_b32 s4, v1, s6
	;; [unrolled: 1-line block ×4, first 2 shown]
	s_delay_alu instid0(VALU_DEP_3) | instskip(NEXT) | instid1(VALU_DEP_2)
	v_dual_mov_b32 v0, s1 :: v_dual_mov_b32 v1, s4
	v_dual_mov_b32 v2, s5 :: v_dual_mov_b32 v3, s6
	s_cbranch_scc1 .LBB148_1
; %bb.2:
	v_add_co_u32 v4, vcc_lo, s2, v4
	v_add_co_ci_u32_e32 v5, vcc_lo, s3, v5, vcc_lo
	v_dual_mov_b32 v0, s1 :: v_dual_mov_b32 v1, s4
	v_dual_mov_b32 v2, s5 :: v_dual_mov_b32 v3, s6
	global_store_b128 v[4:5], v[0:3], off
	s_nop 0
	s_sendmsg sendmsg(MSG_DEALLOC_VGPRS)
	s_endpgm
	.section	.rodata,"a",@progbits
	.p2align	6, 0x0
	.amdhsa_kernel _Z6kernelI9broadcastoLj32ELj100EEvPKT0_PS1_S1_
		.amdhsa_group_segment_fixed_size 0
		.amdhsa_private_segment_fixed_size 0
		.amdhsa_kernarg_size 288
		.amdhsa_user_sgpr_count 15
		.amdhsa_user_sgpr_dispatch_ptr 0
		.amdhsa_user_sgpr_queue_ptr 0
		.amdhsa_user_sgpr_kernarg_segment_ptr 1
		.amdhsa_user_sgpr_dispatch_id 0
		.amdhsa_user_sgpr_private_segment_size 0
		.amdhsa_wavefront_size32 1
		.amdhsa_uses_dynamic_stack 0
		.amdhsa_enable_private_segment 0
		.amdhsa_system_sgpr_workgroup_id_x 1
		.amdhsa_system_sgpr_workgroup_id_y 0
		.amdhsa_system_sgpr_workgroup_id_z 0
		.amdhsa_system_sgpr_workgroup_info 0
		.amdhsa_system_vgpr_workitem_id 0
		.amdhsa_next_free_vgpr 8
		.amdhsa_next_free_sgpr 16
		.amdhsa_reserve_vcc 1
		.amdhsa_float_round_mode_32 0
		.amdhsa_float_round_mode_16_64 0
		.amdhsa_float_denorm_mode_32 3
		.amdhsa_float_denorm_mode_16_64 3
		.amdhsa_dx10_clamp 1
		.amdhsa_ieee_mode 1
		.amdhsa_fp16_overflow 0
		.amdhsa_workgroup_processor_mode 1
		.amdhsa_memory_ordered 1
		.amdhsa_forward_progress 0
		.amdhsa_shared_vgpr_count 0
		.amdhsa_exception_fp_ieee_invalid_op 0
		.amdhsa_exception_fp_denorm_src 0
		.amdhsa_exception_fp_ieee_div_zero 0
		.amdhsa_exception_fp_ieee_overflow 0
		.amdhsa_exception_fp_ieee_underflow 0
		.amdhsa_exception_fp_ieee_inexact 0
		.amdhsa_exception_int_div_zero 0
	.end_amdhsa_kernel
	.section	.text._Z6kernelI9broadcastoLj32ELj100EEvPKT0_PS1_S1_,"axG",@progbits,_Z6kernelI9broadcastoLj32ELj100EEvPKT0_PS1_S1_,comdat
.Lfunc_end148:
	.size	_Z6kernelI9broadcastoLj32ELj100EEvPKT0_PS1_S1_, .Lfunc_end148-_Z6kernelI9broadcastoLj32ELj100EEvPKT0_PS1_S1_
                                        ; -- End function
	.section	.AMDGPU.csdata,"",@progbits
; Kernel info:
; codeLenInByte = 216
; NumSgprs: 18
; NumVgprs: 8
; ScratchSize: 0
; MemoryBound: 0
; FloatMode: 240
; IeeeMode: 1
; LDSByteSize: 0 bytes/workgroup (compile time only)
; SGPRBlocks: 2
; VGPRBlocks: 0
; NumSGPRsForWavesPerEU: 18
; NumVGPRsForWavesPerEU: 8
; Occupancy: 16
; WaveLimiterHint : 0
; COMPUTE_PGM_RSRC2:SCRATCH_EN: 0
; COMPUTE_PGM_RSRC2:USER_SGPR: 15
; COMPUTE_PGM_RSRC2:TRAP_HANDLER: 0
; COMPUTE_PGM_RSRC2:TGID_X_EN: 1
; COMPUTE_PGM_RSRC2:TGID_Y_EN: 0
; COMPUTE_PGM_RSRC2:TGID_Z_EN: 0
; COMPUTE_PGM_RSRC2:TIDIG_COMP_CNT: 0
	.section	.text._Z6kernelI9broadcastoLj16ELj100EEvPKT0_PS1_S1_,"axG",@progbits,_Z6kernelI9broadcastoLj16ELj100EEvPKT0_PS1_S1_,comdat
	.protected	_Z6kernelI9broadcastoLj16ELj100EEvPKT0_PS1_S1_ ; -- Begin function _Z6kernelI9broadcastoLj16ELj100EEvPKT0_PS1_S1_
	.globl	_Z6kernelI9broadcastoLj16ELj100EEvPKT0_PS1_S1_
	.p2align	8
	.type	_Z6kernelI9broadcastoLj16ELj100EEvPKT0_PS1_S1_,@function
_Z6kernelI9broadcastoLj16ELj100EEvPKT0_PS1_S1_: ; @_Z6kernelI9broadcastoLj16ELj100EEvPKT0_PS1_S1_
; %bb.0:
	s_clause 0x1
	s_load_b32 s4, s[0:1], 0x2c
	s_load_b128 s[0:3], s[0:1], 0x0
	s_waitcnt lgkmcnt(0)
	s_and_b32 s4, s4, 0xffff
	s_delay_alu instid0(SALU_CYCLE_1) | instskip(SKIP_1) | instid1(VALU_DEP_1)
	v_mad_u64_u32 v[6:7], null, s15, s4, v[0:1]
	v_mov_b32_e32 v7, 0
	v_lshlrev_b64 v[4:5], 4, v[6:7]
	v_mbcnt_lo_u32_b32 v7, -1, 0
	v_lshrrev_b32_e32 v6, 4, v6
	s_delay_alu instid0(VALU_DEP_2) | instskip(NEXT) | instid1(VALU_DEP_4)
	v_and_b32_e32 v7, 16, v7
	v_add_co_u32 v0, vcc_lo, s0, v4
	v_add_co_ci_u32_e32 v1, vcc_lo, s1, v5, vcc_lo
	s_delay_alu instid0(VALU_DEP_3)
	v_and_or_b32 v6, v6, 15, v7
	s_movk_i32 s0, 0x64
	global_load_b128 v[0:3], v[0:1], off
	v_lshlrev_b32_e32 v6, 2, v6
.LBB149_1:                              ; =>This Inner Loop Header: Depth=1
	s_waitcnt vmcnt(0) lgkmcnt(3)
	ds_bpermute_b32 v0, v6, v0
	s_waitcnt lgkmcnt(3)
	ds_bpermute_b32 v1, v6, v1
	s_waitcnt lgkmcnt(3)
	;; [unrolled: 2-line block ×3, first 2 shown]
	ds_bpermute_b32 v3, v6, v3
	s_add_i32 s0, s0, -1
	s_delay_alu instid0(SALU_CYCLE_1)
	s_cmp_lg_u32 s0, 0
	s_cbranch_scc1 .LBB149_1
; %bb.2:
	v_add_co_u32 v4, vcc_lo, s2, v4
	v_add_co_ci_u32_e32 v5, vcc_lo, s3, v5, vcc_lo
	s_waitcnt lgkmcnt(0)
	global_store_b128 v[4:5], v[0:3], off
	s_nop 0
	s_sendmsg sendmsg(MSG_DEALLOC_VGPRS)
	s_endpgm
	.section	.rodata,"a",@progbits
	.p2align	6, 0x0
	.amdhsa_kernel _Z6kernelI9broadcastoLj16ELj100EEvPKT0_PS1_S1_
		.amdhsa_group_segment_fixed_size 0
		.amdhsa_private_segment_fixed_size 0
		.amdhsa_kernarg_size 288
		.amdhsa_user_sgpr_count 15
		.amdhsa_user_sgpr_dispatch_ptr 0
		.amdhsa_user_sgpr_queue_ptr 0
		.amdhsa_user_sgpr_kernarg_segment_ptr 1
		.amdhsa_user_sgpr_dispatch_id 0
		.amdhsa_user_sgpr_private_segment_size 0
		.amdhsa_wavefront_size32 1
		.amdhsa_uses_dynamic_stack 0
		.amdhsa_enable_private_segment 0
		.amdhsa_system_sgpr_workgroup_id_x 1
		.amdhsa_system_sgpr_workgroup_id_y 0
		.amdhsa_system_sgpr_workgroup_id_z 0
		.amdhsa_system_sgpr_workgroup_info 0
		.amdhsa_system_vgpr_workitem_id 0
		.amdhsa_next_free_vgpr 8
		.amdhsa_next_free_sgpr 16
		.amdhsa_reserve_vcc 1
		.amdhsa_float_round_mode_32 0
		.amdhsa_float_round_mode_16_64 0
		.amdhsa_float_denorm_mode_32 3
		.amdhsa_float_denorm_mode_16_64 3
		.amdhsa_dx10_clamp 1
		.amdhsa_ieee_mode 1
		.amdhsa_fp16_overflow 0
		.amdhsa_workgroup_processor_mode 1
		.amdhsa_memory_ordered 1
		.amdhsa_forward_progress 0
		.amdhsa_shared_vgpr_count 0
		.amdhsa_exception_fp_ieee_invalid_op 0
		.amdhsa_exception_fp_denorm_src 0
		.amdhsa_exception_fp_ieee_div_zero 0
		.amdhsa_exception_fp_ieee_overflow 0
		.amdhsa_exception_fp_ieee_underflow 0
		.amdhsa_exception_fp_ieee_inexact 0
		.amdhsa_exception_int_div_zero 0
	.end_amdhsa_kernel
	.section	.text._Z6kernelI9broadcastoLj16ELj100EEvPKT0_PS1_S1_,"axG",@progbits,_Z6kernelI9broadcastoLj16ELj100EEvPKT0_PS1_S1_,comdat
.Lfunc_end149:
	.size	_Z6kernelI9broadcastoLj16ELj100EEvPKT0_PS1_S1_, .Lfunc_end149-_Z6kernelI9broadcastoLj16ELj100EEvPKT0_PS1_S1_
                                        ; -- End function
	.section	.AMDGPU.csdata,"",@progbits
; Kernel info:
; codeLenInByte = 216
; NumSgprs: 18
; NumVgprs: 8
; ScratchSize: 0
; MemoryBound: 0
; FloatMode: 240
; IeeeMode: 1
; LDSByteSize: 0 bytes/workgroup (compile time only)
; SGPRBlocks: 2
; VGPRBlocks: 0
; NumSGPRsForWavesPerEU: 18
; NumVGPRsForWavesPerEU: 8
; Occupancy: 16
; WaveLimiterHint : 0
; COMPUTE_PGM_RSRC2:SCRATCH_EN: 0
; COMPUTE_PGM_RSRC2:USER_SGPR: 15
; COMPUTE_PGM_RSRC2:TRAP_HANDLER: 0
; COMPUTE_PGM_RSRC2:TGID_X_EN: 1
; COMPUTE_PGM_RSRC2:TGID_Y_EN: 0
; COMPUTE_PGM_RSRC2:TGID_Z_EN: 0
; COMPUTE_PGM_RSRC2:TIDIG_COMP_CNT: 0
	.text
	.p2alignl 7, 3214868480
	.fill 96, 4, 3214868480
	.type	__hip_cuid_317ea1c57f918b14,@object ; @__hip_cuid_317ea1c57f918b14
	.section	.bss,"aw",@nobits
	.globl	__hip_cuid_317ea1c57f918b14
__hip_cuid_317ea1c57f918b14:
	.byte	0                               ; 0x0
	.size	__hip_cuid_317ea1c57f918b14, 1

	.ident	"AMD clang version 19.0.0git (https://github.com/RadeonOpenCompute/llvm-project roc-6.4.0 25133 c7fe45cf4b819c5991fe208aaa96edf142730f1d)"
	.section	".note.GNU-stack","",@progbits
	.addrsig
	.addrsig_sym __hip_cuid_317ea1c57f918b14
	.amdgpu_metadata
---
amdhsa.kernels:
  - .args:
      - .address_space:  global
        .offset:         0
        .size:           8
        .value_kind:     global_buffer
      - .address_space:  global
        .offset:         8
        .size:           8
        .value_kind:     global_buffer
      - .offset:         16
        .size:           4
        .value_kind:     by_value
      - .offset:         24
        .size:           4
        .value_kind:     hidden_block_count_x
      - .offset:         28
        .size:           4
        .value_kind:     hidden_block_count_y
      - .offset:         32
        .size:           4
        .value_kind:     hidden_block_count_z
      - .offset:         36
        .size:           2
        .value_kind:     hidden_group_size_x
      - .offset:         38
        .size:           2
        .value_kind:     hidden_group_size_y
      - .offset:         40
        .size:           2
        .value_kind:     hidden_group_size_z
      - .offset:         42
        .size:           2
        .value_kind:     hidden_remainder_x
      - .offset:         44
        .size:           2
        .value_kind:     hidden_remainder_y
      - .offset:         46
        .size:           2
        .value_kind:     hidden_remainder_z
      - .offset:         64
        .size:           8
        .value_kind:     hidden_global_offset_x
      - .offset:         72
        .size:           8
        .value_kind:     hidden_global_offset_y
      - .offset:         80
        .size:           8
        .value_kind:     hidden_global_offset_z
      - .offset:         88
        .size:           2
        .value_kind:     hidden_grid_dims
    .group_segment_fixed_size: 0
    .kernarg_segment_align: 8
    .kernarg_segment_size: 280
    .language:       OpenCL C
    .language_version:
      - 2
      - 0
    .max_flat_workgroup_size: 256
    .name:           _Z6kernelI14inclusive_scaniLj64ELj100EEvPKT0_PS1_S1_
    .private_segment_fixed_size: 0
    .sgpr_count:     18
    .sgpr_spill_count: 0
    .symbol:         _Z6kernelI14inclusive_scaniLj64ELj100EEvPKT0_PS1_S1_.kd
    .uniform_work_group_size: 1
    .uses_dynamic_stack: false
    .vgpr_count:     4
    .vgpr_spill_count: 0
    .wavefront_size: 32
    .workgroup_processor_mode: 1
  - .args:
      - .address_space:  global
        .offset:         0
        .size:           8
        .value_kind:     global_buffer
      - .address_space:  global
        .offset:         8
        .size:           8
        .value_kind:     global_buffer
      - .offset:         16
        .size:           4
        .value_kind:     by_value
      - .offset:         24
        .size:           4
        .value_kind:     hidden_block_count_x
      - .offset:         28
        .size:           4
        .value_kind:     hidden_block_count_y
      - .offset:         32
        .size:           4
        .value_kind:     hidden_block_count_z
      - .offset:         36
        .size:           2
        .value_kind:     hidden_group_size_x
      - .offset:         38
        .size:           2
        .value_kind:     hidden_group_size_y
      - .offset:         40
        .size:           2
        .value_kind:     hidden_group_size_z
      - .offset:         42
        .size:           2
        .value_kind:     hidden_remainder_x
      - .offset:         44
        .size:           2
        .value_kind:     hidden_remainder_y
      - .offset:         46
        .size:           2
        .value_kind:     hidden_remainder_z
      - .offset:         64
        .size:           8
        .value_kind:     hidden_global_offset_x
      - .offset:         72
        .size:           8
        .value_kind:     hidden_global_offset_y
      - .offset:         80
        .size:           8
        .value_kind:     hidden_global_offset_z
      - .offset:         88
        .size:           2
        .value_kind:     hidden_grid_dims
    .group_segment_fixed_size: 0
    .kernarg_segment_align: 8
    .kernarg_segment_size: 280
    .language:       OpenCL C
    .language_version:
      - 2
      - 0
    .max_flat_workgroup_size: 256
    .name:           _Z6kernelI14inclusive_scaniLj32ELj100EEvPKT0_PS1_S1_
    .private_segment_fixed_size: 0
    .sgpr_count:     18
    .sgpr_spill_count: 0
    .symbol:         _Z6kernelI14inclusive_scaniLj32ELj100EEvPKT0_PS1_S1_.kd
    .uniform_work_group_size: 1
    .uses_dynamic_stack: false
    .vgpr_count:     5
    .vgpr_spill_count: 0
    .wavefront_size: 32
    .workgroup_processor_mode: 1
  - .args:
      - .address_space:  global
        .offset:         0
        .size:           8
        .value_kind:     global_buffer
      - .address_space:  global
        .offset:         8
        .size:           8
        .value_kind:     global_buffer
      - .offset:         16
        .size:           4
        .value_kind:     by_value
      - .offset:         24
        .size:           4
        .value_kind:     hidden_block_count_x
      - .offset:         28
        .size:           4
        .value_kind:     hidden_block_count_y
      - .offset:         32
        .size:           4
        .value_kind:     hidden_block_count_z
      - .offset:         36
        .size:           2
        .value_kind:     hidden_group_size_x
      - .offset:         38
        .size:           2
        .value_kind:     hidden_group_size_y
      - .offset:         40
        .size:           2
        .value_kind:     hidden_group_size_z
      - .offset:         42
        .size:           2
        .value_kind:     hidden_remainder_x
      - .offset:         44
        .size:           2
        .value_kind:     hidden_remainder_y
      - .offset:         46
        .size:           2
        .value_kind:     hidden_remainder_z
      - .offset:         64
        .size:           8
        .value_kind:     hidden_global_offset_x
      - .offset:         72
        .size:           8
        .value_kind:     hidden_global_offset_y
      - .offset:         80
        .size:           8
        .value_kind:     hidden_global_offset_z
      - .offset:         88
        .size:           2
        .value_kind:     hidden_grid_dims
    .group_segment_fixed_size: 0
    .kernarg_segment_align: 8
    .kernarg_segment_size: 280
    .language:       OpenCL C
    .language_version:
      - 2
      - 0
    .max_flat_workgroup_size: 256
    .name:           _Z6kernelI14inclusive_scaniLj16ELj100EEvPKT0_PS1_S1_
    .private_segment_fixed_size: 0
    .sgpr_count:     18
    .sgpr_spill_count: 0
    .symbol:         _Z6kernelI14inclusive_scaniLj16ELj100EEvPKT0_PS1_S1_.kd
    .uniform_work_group_size: 1
    .uses_dynamic_stack: false
    .vgpr_count:     4
    .vgpr_spill_count: 0
    .wavefront_size: 32
    .workgroup_processor_mode: 1
  - .args:
      - .address_space:  global
        .offset:         0
        .size:           8
        .value_kind:     global_buffer
      - .address_space:  global
        .offset:         8
        .size:           8
        .value_kind:     global_buffer
      - .offset:         16
        .size:           4
        .value_kind:     by_value
      - .offset:         24
        .size:           4
        .value_kind:     hidden_block_count_x
      - .offset:         28
        .size:           4
        .value_kind:     hidden_block_count_y
      - .offset:         32
        .size:           4
        .value_kind:     hidden_block_count_z
      - .offset:         36
        .size:           2
        .value_kind:     hidden_group_size_x
      - .offset:         38
        .size:           2
        .value_kind:     hidden_group_size_y
      - .offset:         40
        .size:           2
        .value_kind:     hidden_group_size_z
      - .offset:         42
        .size:           2
        .value_kind:     hidden_remainder_x
      - .offset:         44
        .size:           2
        .value_kind:     hidden_remainder_y
      - .offset:         46
        .size:           2
        .value_kind:     hidden_remainder_z
      - .offset:         64
        .size:           8
        .value_kind:     hidden_global_offset_x
      - .offset:         72
        .size:           8
        .value_kind:     hidden_global_offset_y
      - .offset:         80
        .size:           8
        .value_kind:     hidden_global_offset_z
      - .offset:         88
        .size:           2
        .value_kind:     hidden_grid_dims
    .group_segment_fixed_size: 0
    .kernarg_segment_align: 8
    .kernarg_segment_size: 280
    .language:       OpenCL C
    .language_version:
      - 2
      - 0
    .max_flat_workgroup_size: 256
    .name:           _Z6kernelI14inclusive_scaniLj63ELj100EEvPKT0_PS1_S1_
    .private_segment_fixed_size: 0
    .sgpr_count:     18
    .sgpr_spill_count: 0
    .symbol:         _Z6kernelI14inclusive_scaniLj63ELj100EEvPKT0_PS1_S1_.kd
    .uniform_work_group_size: 1
    .uses_dynamic_stack: false
    .vgpr_count:     4
    .vgpr_spill_count: 0
    .wavefront_size: 32
    .workgroup_processor_mode: 1
  - .args:
      - .address_space:  global
        .offset:         0
        .size:           8
        .value_kind:     global_buffer
      - .address_space:  global
        .offset:         8
        .size:           8
        .value_kind:     global_buffer
      - .offset:         16
        .size:           4
        .value_kind:     by_value
      - .offset:         24
        .size:           4
        .value_kind:     hidden_block_count_x
      - .offset:         28
        .size:           4
        .value_kind:     hidden_block_count_y
      - .offset:         32
        .size:           4
        .value_kind:     hidden_block_count_z
      - .offset:         36
        .size:           2
        .value_kind:     hidden_group_size_x
      - .offset:         38
        .size:           2
        .value_kind:     hidden_group_size_y
      - .offset:         40
        .size:           2
        .value_kind:     hidden_group_size_z
      - .offset:         42
        .size:           2
        .value_kind:     hidden_remainder_x
      - .offset:         44
        .size:           2
        .value_kind:     hidden_remainder_y
      - .offset:         46
        .size:           2
        .value_kind:     hidden_remainder_z
      - .offset:         64
        .size:           8
        .value_kind:     hidden_global_offset_x
      - .offset:         72
        .size:           8
        .value_kind:     hidden_global_offset_y
      - .offset:         80
        .size:           8
        .value_kind:     hidden_global_offset_z
      - .offset:         88
        .size:           2
        .value_kind:     hidden_grid_dims
    .group_segment_fixed_size: 124
    .kernarg_segment_align: 8
    .kernarg_segment_size: 280
    .language:       OpenCL C
    .language_version:
      - 2
      - 0
    .max_flat_workgroup_size: 256
    .name:           _Z6kernelI14inclusive_scaniLj31ELj100EEvPKT0_PS1_S1_
    .private_segment_fixed_size: 0
    .sgpr_count:     18
    .sgpr_spill_count: 0
    .symbol:         _Z6kernelI14inclusive_scaniLj31ELj100EEvPKT0_PS1_S1_.kd
    .uniform_work_group_size: 1
    .uses_dynamic_stack: false
    .vgpr_count:     10
    .vgpr_spill_count: 0
    .wavefront_size: 32
    .workgroup_processor_mode: 1
  - .args:
      - .address_space:  global
        .offset:         0
        .size:           8
        .value_kind:     global_buffer
      - .address_space:  global
        .offset:         8
        .size:           8
        .value_kind:     global_buffer
      - .offset:         16
        .size:           4
        .value_kind:     by_value
      - .offset:         24
        .size:           4
        .value_kind:     hidden_block_count_x
      - .offset:         28
        .size:           4
        .value_kind:     hidden_block_count_y
      - .offset:         32
        .size:           4
        .value_kind:     hidden_block_count_z
      - .offset:         36
        .size:           2
        .value_kind:     hidden_group_size_x
      - .offset:         38
        .size:           2
        .value_kind:     hidden_group_size_y
      - .offset:         40
        .size:           2
        .value_kind:     hidden_group_size_z
      - .offset:         42
        .size:           2
        .value_kind:     hidden_remainder_x
      - .offset:         44
        .size:           2
        .value_kind:     hidden_remainder_y
      - .offset:         46
        .size:           2
        .value_kind:     hidden_remainder_z
      - .offset:         64
        .size:           8
        .value_kind:     hidden_global_offset_x
      - .offset:         72
        .size:           8
        .value_kind:     hidden_global_offset_y
      - .offset:         80
        .size:           8
        .value_kind:     hidden_global_offset_z
      - .offset:         88
        .size:           2
        .value_kind:     hidden_grid_dims
    .group_segment_fixed_size: 60
    .kernarg_segment_align: 8
    .kernarg_segment_size: 280
    .language:       OpenCL C
    .language_version:
      - 2
      - 0
    .max_flat_workgroup_size: 256
    .name:           _Z6kernelI14inclusive_scaniLj15ELj100EEvPKT0_PS1_S1_
    .private_segment_fixed_size: 0
    .sgpr_count:     18
    .sgpr_spill_count: 0
    .symbol:         _Z6kernelI14inclusive_scaniLj15ELj100EEvPKT0_PS1_S1_.kd
    .uniform_work_group_size: 1
    .uses_dynamic_stack: false
    .vgpr_count:     9
    .vgpr_spill_count: 0
    .wavefront_size: 32
    .workgroup_processor_mode: 1
  - .args:
      - .address_space:  global
        .offset:         0
        .size:           8
        .value_kind:     global_buffer
      - .address_space:  global
        .offset:         8
        .size:           8
        .value_kind:     global_buffer
      - .offset:         16
        .size:           4
        .value_kind:     by_value
      - .offset:         24
        .size:           4
        .value_kind:     hidden_block_count_x
      - .offset:         28
        .size:           4
        .value_kind:     hidden_block_count_y
      - .offset:         32
        .size:           4
        .value_kind:     hidden_block_count_z
      - .offset:         36
        .size:           2
        .value_kind:     hidden_group_size_x
      - .offset:         38
        .size:           2
        .value_kind:     hidden_group_size_y
      - .offset:         40
        .size:           2
        .value_kind:     hidden_group_size_z
      - .offset:         42
        .size:           2
        .value_kind:     hidden_remainder_x
      - .offset:         44
        .size:           2
        .value_kind:     hidden_remainder_y
      - .offset:         46
        .size:           2
        .value_kind:     hidden_remainder_z
      - .offset:         64
        .size:           8
        .value_kind:     hidden_global_offset_x
      - .offset:         72
        .size:           8
        .value_kind:     hidden_global_offset_y
      - .offset:         80
        .size:           8
        .value_kind:     hidden_global_offset_z
      - .offset:         88
        .size:           2
        .value_kind:     hidden_grid_dims
    .group_segment_fixed_size: 0
    .kernarg_segment_align: 8
    .kernarg_segment_size: 280
    .language:       OpenCL C
    .language_version:
      - 2
      - 0
    .max_flat_workgroup_size: 256
    .name:           _Z6kernelI14inclusive_scanfLj64ELj100EEvPKT0_PS1_S1_
    .private_segment_fixed_size: 0
    .sgpr_count:     18
    .sgpr_spill_count: 0
    .symbol:         _Z6kernelI14inclusive_scanfLj64ELj100EEvPKT0_PS1_S1_.kd
    .uniform_work_group_size: 1
    .uses_dynamic_stack: false
    .vgpr_count:     4
    .vgpr_spill_count: 0
    .wavefront_size: 32
    .workgroup_processor_mode: 1
  - .args:
      - .address_space:  global
        .offset:         0
        .size:           8
        .value_kind:     global_buffer
      - .address_space:  global
        .offset:         8
        .size:           8
        .value_kind:     global_buffer
      - .offset:         16
        .size:           4
        .value_kind:     by_value
      - .offset:         24
        .size:           4
        .value_kind:     hidden_block_count_x
      - .offset:         28
        .size:           4
        .value_kind:     hidden_block_count_y
      - .offset:         32
        .size:           4
        .value_kind:     hidden_block_count_z
      - .offset:         36
        .size:           2
        .value_kind:     hidden_group_size_x
      - .offset:         38
        .size:           2
        .value_kind:     hidden_group_size_y
      - .offset:         40
        .size:           2
        .value_kind:     hidden_group_size_z
      - .offset:         42
        .size:           2
        .value_kind:     hidden_remainder_x
      - .offset:         44
        .size:           2
        .value_kind:     hidden_remainder_y
      - .offset:         46
        .size:           2
        .value_kind:     hidden_remainder_z
      - .offset:         64
        .size:           8
        .value_kind:     hidden_global_offset_x
      - .offset:         72
        .size:           8
        .value_kind:     hidden_global_offset_y
      - .offset:         80
        .size:           8
        .value_kind:     hidden_global_offset_z
      - .offset:         88
        .size:           2
        .value_kind:     hidden_grid_dims
    .group_segment_fixed_size: 0
    .kernarg_segment_align: 8
    .kernarg_segment_size: 280
    .language:       OpenCL C
    .language_version:
      - 2
      - 0
    .max_flat_workgroup_size: 256
    .name:           _Z6kernelI14inclusive_scanfLj32ELj100EEvPKT0_PS1_S1_
    .private_segment_fixed_size: 0
    .sgpr_count:     18
    .sgpr_spill_count: 0
    .symbol:         _Z6kernelI14inclusive_scanfLj32ELj100EEvPKT0_PS1_S1_.kd
    .uniform_work_group_size: 1
    .uses_dynamic_stack: false
    .vgpr_count:     5
    .vgpr_spill_count: 0
    .wavefront_size: 32
    .workgroup_processor_mode: 1
  - .args:
      - .address_space:  global
        .offset:         0
        .size:           8
        .value_kind:     global_buffer
      - .address_space:  global
        .offset:         8
        .size:           8
        .value_kind:     global_buffer
      - .offset:         16
        .size:           4
        .value_kind:     by_value
      - .offset:         24
        .size:           4
        .value_kind:     hidden_block_count_x
      - .offset:         28
        .size:           4
        .value_kind:     hidden_block_count_y
      - .offset:         32
        .size:           4
        .value_kind:     hidden_block_count_z
      - .offset:         36
        .size:           2
        .value_kind:     hidden_group_size_x
      - .offset:         38
        .size:           2
        .value_kind:     hidden_group_size_y
      - .offset:         40
        .size:           2
        .value_kind:     hidden_group_size_z
      - .offset:         42
        .size:           2
        .value_kind:     hidden_remainder_x
      - .offset:         44
        .size:           2
        .value_kind:     hidden_remainder_y
      - .offset:         46
        .size:           2
        .value_kind:     hidden_remainder_z
      - .offset:         64
        .size:           8
        .value_kind:     hidden_global_offset_x
      - .offset:         72
        .size:           8
        .value_kind:     hidden_global_offset_y
      - .offset:         80
        .size:           8
        .value_kind:     hidden_global_offset_z
      - .offset:         88
        .size:           2
        .value_kind:     hidden_grid_dims
    .group_segment_fixed_size: 0
    .kernarg_segment_align: 8
    .kernarg_segment_size: 280
    .language:       OpenCL C
    .language_version:
      - 2
      - 0
    .max_flat_workgroup_size: 256
    .name:           _Z6kernelI14inclusive_scanfLj16ELj100EEvPKT0_PS1_S1_
    .private_segment_fixed_size: 0
    .sgpr_count:     18
    .sgpr_spill_count: 0
    .symbol:         _Z6kernelI14inclusive_scanfLj16ELj100EEvPKT0_PS1_S1_.kd
    .uniform_work_group_size: 1
    .uses_dynamic_stack: false
    .vgpr_count:     4
    .vgpr_spill_count: 0
    .wavefront_size: 32
    .workgroup_processor_mode: 1
  - .args:
      - .address_space:  global
        .offset:         0
        .size:           8
        .value_kind:     global_buffer
      - .address_space:  global
        .offset:         8
        .size:           8
        .value_kind:     global_buffer
      - .offset:         16
        .size:           4
        .value_kind:     by_value
      - .offset:         24
        .size:           4
        .value_kind:     hidden_block_count_x
      - .offset:         28
        .size:           4
        .value_kind:     hidden_block_count_y
      - .offset:         32
        .size:           4
        .value_kind:     hidden_block_count_z
      - .offset:         36
        .size:           2
        .value_kind:     hidden_group_size_x
      - .offset:         38
        .size:           2
        .value_kind:     hidden_group_size_y
      - .offset:         40
        .size:           2
        .value_kind:     hidden_group_size_z
      - .offset:         42
        .size:           2
        .value_kind:     hidden_remainder_x
      - .offset:         44
        .size:           2
        .value_kind:     hidden_remainder_y
      - .offset:         46
        .size:           2
        .value_kind:     hidden_remainder_z
      - .offset:         64
        .size:           8
        .value_kind:     hidden_global_offset_x
      - .offset:         72
        .size:           8
        .value_kind:     hidden_global_offset_y
      - .offset:         80
        .size:           8
        .value_kind:     hidden_global_offset_z
      - .offset:         88
        .size:           2
        .value_kind:     hidden_grid_dims
    .group_segment_fixed_size: 0
    .kernarg_segment_align: 8
    .kernarg_segment_size: 280
    .language:       OpenCL C
    .language_version:
      - 2
      - 0
    .max_flat_workgroup_size: 256
    .name:           _Z6kernelI14inclusive_scanfLj63ELj100EEvPKT0_PS1_S1_
    .private_segment_fixed_size: 0
    .sgpr_count:     18
    .sgpr_spill_count: 0
    .symbol:         _Z6kernelI14inclusive_scanfLj63ELj100EEvPKT0_PS1_S1_.kd
    .uniform_work_group_size: 1
    .uses_dynamic_stack: false
    .vgpr_count:     4
    .vgpr_spill_count: 0
    .wavefront_size: 32
    .workgroup_processor_mode: 1
  - .args:
      - .address_space:  global
        .offset:         0
        .size:           8
        .value_kind:     global_buffer
      - .address_space:  global
        .offset:         8
        .size:           8
        .value_kind:     global_buffer
      - .offset:         16
        .size:           4
        .value_kind:     by_value
      - .offset:         24
        .size:           4
        .value_kind:     hidden_block_count_x
      - .offset:         28
        .size:           4
        .value_kind:     hidden_block_count_y
      - .offset:         32
        .size:           4
        .value_kind:     hidden_block_count_z
      - .offset:         36
        .size:           2
        .value_kind:     hidden_group_size_x
      - .offset:         38
        .size:           2
        .value_kind:     hidden_group_size_y
      - .offset:         40
        .size:           2
        .value_kind:     hidden_group_size_z
      - .offset:         42
        .size:           2
        .value_kind:     hidden_remainder_x
      - .offset:         44
        .size:           2
        .value_kind:     hidden_remainder_y
      - .offset:         46
        .size:           2
        .value_kind:     hidden_remainder_z
      - .offset:         64
        .size:           8
        .value_kind:     hidden_global_offset_x
      - .offset:         72
        .size:           8
        .value_kind:     hidden_global_offset_y
      - .offset:         80
        .size:           8
        .value_kind:     hidden_global_offset_z
      - .offset:         88
        .size:           2
        .value_kind:     hidden_grid_dims
    .group_segment_fixed_size: 124
    .kernarg_segment_align: 8
    .kernarg_segment_size: 280
    .language:       OpenCL C
    .language_version:
      - 2
      - 0
    .max_flat_workgroup_size: 256
    .name:           _Z6kernelI14inclusive_scanfLj31ELj100EEvPKT0_PS1_S1_
    .private_segment_fixed_size: 0
    .sgpr_count:     18
    .sgpr_spill_count: 0
    .symbol:         _Z6kernelI14inclusive_scanfLj31ELj100EEvPKT0_PS1_S1_.kd
    .uniform_work_group_size: 1
    .uses_dynamic_stack: false
    .vgpr_count:     10
    .vgpr_spill_count: 0
    .wavefront_size: 32
    .workgroup_processor_mode: 1
  - .args:
      - .address_space:  global
        .offset:         0
        .size:           8
        .value_kind:     global_buffer
      - .address_space:  global
        .offset:         8
        .size:           8
        .value_kind:     global_buffer
      - .offset:         16
        .size:           4
        .value_kind:     by_value
      - .offset:         24
        .size:           4
        .value_kind:     hidden_block_count_x
      - .offset:         28
        .size:           4
        .value_kind:     hidden_block_count_y
      - .offset:         32
        .size:           4
        .value_kind:     hidden_block_count_z
      - .offset:         36
        .size:           2
        .value_kind:     hidden_group_size_x
      - .offset:         38
        .size:           2
        .value_kind:     hidden_group_size_y
      - .offset:         40
        .size:           2
        .value_kind:     hidden_group_size_z
      - .offset:         42
        .size:           2
        .value_kind:     hidden_remainder_x
      - .offset:         44
        .size:           2
        .value_kind:     hidden_remainder_y
      - .offset:         46
        .size:           2
        .value_kind:     hidden_remainder_z
      - .offset:         64
        .size:           8
        .value_kind:     hidden_global_offset_x
      - .offset:         72
        .size:           8
        .value_kind:     hidden_global_offset_y
      - .offset:         80
        .size:           8
        .value_kind:     hidden_global_offset_z
      - .offset:         88
        .size:           2
        .value_kind:     hidden_grid_dims
    .group_segment_fixed_size: 60
    .kernarg_segment_align: 8
    .kernarg_segment_size: 280
    .language:       OpenCL C
    .language_version:
      - 2
      - 0
    .max_flat_workgroup_size: 256
    .name:           _Z6kernelI14inclusive_scanfLj15ELj100EEvPKT0_PS1_S1_
    .private_segment_fixed_size: 0
    .sgpr_count:     18
    .sgpr_spill_count: 0
    .symbol:         _Z6kernelI14inclusive_scanfLj15ELj100EEvPKT0_PS1_S1_.kd
    .uniform_work_group_size: 1
    .uses_dynamic_stack: false
    .vgpr_count:     9
    .vgpr_spill_count: 0
    .wavefront_size: 32
    .workgroup_processor_mode: 1
  - .args:
      - .address_space:  global
        .offset:         0
        .size:           8
        .value_kind:     global_buffer
      - .address_space:  global
        .offset:         8
        .size:           8
        .value_kind:     global_buffer
      - .offset:         16
        .size:           8
        .value_kind:     by_value
      - .offset:         24
        .size:           4
        .value_kind:     hidden_block_count_x
      - .offset:         28
        .size:           4
        .value_kind:     hidden_block_count_y
      - .offset:         32
        .size:           4
        .value_kind:     hidden_block_count_z
      - .offset:         36
        .size:           2
        .value_kind:     hidden_group_size_x
      - .offset:         38
        .size:           2
        .value_kind:     hidden_group_size_y
      - .offset:         40
        .size:           2
        .value_kind:     hidden_group_size_z
      - .offset:         42
        .size:           2
        .value_kind:     hidden_remainder_x
      - .offset:         44
        .size:           2
        .value_kind:     hidden_remainder_y
      - .offset:         46
        .size:           2
        .value_kind:     hidden_remainder_z
      - .offset:         64
        .size:           8
        .value_kind:     hidden_global_offset_x
      - .offset:         72
        .size:           8
        .value_kind:     hidden_global_offset_y
      - .offset:         80
        .size:           8
        .value_kind:     hidden_global_offset_z
      - .offset:         88
        .size:           2
        .value_kind:     hidden_grid_dims
    .group_segment_fixed_size: 0
    .kernarg_segment_align: 8
    .kernarg_segment_size: 280
    .language:       OpenCL C
    .language_version:
      - 2
      - 0
    .max_flat_workgroup_size: 256
    .name:           _Z6kernelI14inclusive_scandLj64ELj100EEvPKT0_PS1_S1_
    .private_segment_fixed_size: 0
    .sgpr_count:     18
    .sgpr_spill_count: 0
    .symbol:         _Z6kernelI14inclusive_scandLj64ELj100EEvPKT0_PS1_S1_.kd
    .uniform_work_group_size: 1
    .uses_dynamic_stack: false
    .vgpr_count:     4
    .vgpr_spill_count: 0
    .wavefront_size: 32
    .workgroup_processor_mode: 1
  - .args:
      - .address_space:  global
        .offset:         0
        .size:           8
        .value_kind:     global_buffer
      - .address_space:  global
        .offset:         8
        .size:           8
        .value_kind:     global_buffer
      - .offset:         16
        .size:           8
        .value_kind:     by_value
      - .offset:         24
        .size:           4
        .value_kind:     hidden_block_count_x
      - .offset:         28
        .size:           4
        .value_kind:     hidden_block_count_y
      - .offset:         32
        .size:           4
        .value_kind:     hidden_block_count_z
      - .offset:         36
        .size:           2
        .value_kind:     hidden_group_size_x
      - .offset:         38
        .size:           2
        .value_kind:     hidden_group_size_y
      - .offset:         40
        .size:           2
        .value_kind:     hidden_group_size_z
      - .offset:         42
        .size:           2
        .value_kind:     hidden_remainder_x
      - .offset:         44
        .size:           2
        .value_kind:     hidden_remainder_y
      - .offset:         46
        .size:           2
        .value_kind:     hidden_remainder_z
      - .offset:         64
        .size:           8
        .value_kind:     hidden_global_offset_x
      - .offset:         72
        .size:           8
        .value_kind:     hidden_global_offset_y
      - .offset:         80
        .size:           8
        .value_kind:     hidden_global_offset_z
      - .offset:         88
        .size:           2
        .value_kind:     hidden_grid_dims
    .group_segment_fixed_size: 0
    .kernarg_segment_align: 8
    .kernarg_segment_size: 280
    .language:       OpenCL C
    .language_version:
      - 2
      - 0
    .max_flat_workgroup_size: 256
    .name:           _Z6kernelI14inclusive_scandLj32ELj100EEvPKT0_PS1_S1_
    .private_segment_fixed_size: 0
    .sgpr_count:     18
    .sgpr_spill_count: 0
    .symbol:         _Z6kernelI14inclusive_scandLj32ELj100EEvPKT0_PS1_S1_.kd
    .uniform_work_group_size: 1
    .uses_dynamic_stack: false
    .vgpr_count:     6
    .vgpr_spill_count: 0
    .wavefront_size: 32
    .workgroup_processor_mode: 1
  - .args:
      - .address_space:  global
        .offset:         0
        .size:           8
        .value_kind:     global_buffer
      - .address_space:  global
        .offset:         8
        .size:           8
        .value_kind:     global_buffer
      - .offset:         16
        .size:           8
        .value_kind:     by_value
      - .offset:         24
        .size:           4
        .value_kind:     hidden_block_count_x
      - .offset:         28
        .size:           4
        .value_kind:     hidden_block_count_y
      - .offset:         32
        .size:           4
        .value_kind:     hidden_block_count_z
      - .offset:         36
        .size:           2
        .value_kind:     hidden_group_size_x
      - .offset:         38
        .size:           2
        .value_kind:     hidden_group_size_y
      - .offset:         40
        .size:           2
        .value_kind:     hidden_group_size_z
      - .offset:         42
        .size:           2
        .value_kind:     hidden_remainder_x
      - .offset:         44
        .size:           2
        .value_kind:     hidden_remainder_y
      - .offset:         46
        .size:           2
        .value_kind:     hidden_remainder_z
      - .offset:         64
        .size:           8
        .value_kind:     hidden_global_offset_x
      - .offset:         72
        .size:           8
        .value_kind:     hidden_global_offset_y
      - .offset:         80
        .size:           8
        .value_kind:     hidden_global_offset_z
      - .offset:         88
        .size:           2
        .value_kind:     hidden_grid_dims
    .group_segment_fixed_size: 0
    .kernarg_segment_align: 8
    .kernarg_segment_size: 280
    .language:       OpenCL C
    .language_version:
      - 2
      - 0
    .max_flat_workgroup_size: 256
    .name:           _Z6kernelI14inclusive_scandLj16ELj100EEvPKT0_PS1_S1_
    .private_segment_fixed_size: 0
    .sgpr_count:     18
    .sgpr_spill_count: 0
    .symbol:         _Z6kernelI14inclusive_scandLj16ELj100EEvPKT0_PS1_S1_.kd
    .uniform_work_group_size: 1
    .uses_dynamic_stack: false
    .vgpr_count:     6
    .vgpr_spill_count: 0
    .wavefront_size: 32
    .workgroup_processor_mode: 1
  - .args:
      - .address_space:  global
        .offset:         0
        .size:           8
        .value_kind:     global_buffer
      - .address_space:  global
        .offset:         8
        .size:           8
        .value_kind:     global_buffer
      - .offset:         16
        .size:           8
        .value_kind:     by_value
      - .offset:         24
        .size:           4
        .value_kind:     hidden_block_count_x
      - .offset:         28
        .size:           4
        .value_kind:     hidden_block_count_y
      - .offset:         32
        .size:           4
        .value_kind:     hidden_block_count_z
      - .offset:         36
        .size:           2
        .value_kind:     hidden_group_size_x
      - .offset:         38
        .size:           2
        .value_kind:     hidden_group_size_y
      - .offset:         40
        .size:           2
        .value_kind:     hidden_group_size_z
      - .offset:         42
        .size:           2
        .value_kind:     hidden_remainder_x
      - .offset:         44
        .size:           2
        .value_kind:     hidden_remainder_y
      - .offset:         46
        .size:           2
        .value_kind:     hidden_remainder_z
      - .offset:         64
        .size:           8
        .value_kind:     hidden_global_offset_x
      - .offset:         72
        .size:           8
        .value_kind:     hidden_global_offset_y
      - .offset:         80
        .size:           8
        .value_kind:     hidden_global_offset_z
      - .offset:         88
        .size:           2
        .value_kind:     hidden_grid_dims
    .group_segment_fixed_size: 0
    .kernarg_segment_align: 8
    .kernarg_segment_size: 280
    .language:       OpenCL C
    .language_version:
      - 2
      - 0
    .max_flat_workgroup_size: 256
    .name:           _Z6kernelI14inclusive_scandLj63ELj100EEvPKT0_PS1_S1_
    .private_segment_fixed_size: 0
    .sgpr_count:     18
    .sgpr_spill_count: 0
    .symbol:         _Z6kernelI14inclusive_scandLj63ELj100EEvPKT0_PS1_S1_.kd
    .uniform_work_group_size: 1
    .uses_dynamic_stack: false
    .vgpr_count:     4
    .vgpr_spill_count: 0
    .wavefront_size: 32
    .workgroup_processor_mode: 1
  - .args:
      - .address_space:  global
        .offset:         0
        .size:           8
        .value_kind:     global_buffer
      - .address_space:  global
        .offset:         8
        .size:           8
        .value_kind:     global_buffer
      - .offset:         16
        .size:           8
        .value_kind:     by_value
      - .offset:         24
        .size:           4
        .value_kind:     hidden_block_count_x
      - .offset:         28
        .size:           4
        .value_kind:     hidden_block_count_y
      - .offset:         32
        .size:           4
        .value_kind:     hidden_block_count_z
      - .offset:         36
        .size:           2
        .value_kind:     hidden_group_size_x
      - .offset:         38
        .size:           2
        .value_kind:     hidden_group_size_y
      - .offset:         40
        .size:           2
        .value_kind:     hidden_group_size_z
      - .offset:         42
        .size:           2
        .value_kind:     hidden_remainder_x
      - .offset:         44
        .size:           2
        .value_kind:     hidden_remainder_y
      - .offset:         46
        .size:           2
        .value_kind:     hidden_remainder_z
      - .offset:         64
        .size:           8
        .value_kind:     hidden_global_offset_x
      - .offset:         72
        .size:           8
        .value_kind:     hidden_global_offset_y
      - .offset:         80
        .size:           8
        .value_kind:     hidden_global_offset_z
      - .offset:         88
        .size:           2
        .value_kind:     hidden_grid_dims
    .group_segment_fixed_size: 248
    .kernarg_segment_align: 8
    .kernarg_segment_size: 280
    .language:       OpenCL C
    .language_version:
      - 2
      - 0
    .max_flat_workgroup_size: 256
    .name:           _Z6kernelI14inclusive_scandLj31ELj100EEvPKT0_PS1_S1_
    .private_segment_fixed_size: 0
    .sgpr_count:     18
    .sgpr_spill_count: 0
    .symbol:         _Z6kernelI14inclusive_scandLj31ELj100EEvPKT0_PS1_S1_.kd
    .uniform_work_group_size: 1
    .uses_dynamic_stack: false
    .vgpr_count:     12
    .vgpr_spill_count: 0
    .wavefront_size: 32
    .workgroup_processor_mode: 1
  - .args:
      - .address_space:  global
        .offset:         0
        .size:           8
        .value_kind:     global_buffer
      - .address_space:  global
        .offset:         8
        .size:           8
        .value_kind:     global_buffer
      - .offset:         16
        .size:           8
        .value_kind:     by_value
      - .offset:         24
        .size:           4
        .value_kind:     hidden_block_count_x
      - .offset:         28
        .size:           4
        .value_kind:     hidden_block_count_y
      - .offset:         32
        .size:           4
        .value_kind:     hidden_block_count_z
      - .offset:         36
        .size:           2
        .value_kind:     hidden_group_size_x
      - .offset:         38
        .size:           2
        .value_kind:     hidden_group_size_y
      - .offset:         40
        .size:           2
        .value_kind:     hidden_group_size_z
      - .offset:         42
        .size:           2
        .value_kind:     hidden_remainder_x
      - .offset:         44
        .size:           2
        .value_kind:     hidden_remainder_y
      - .offset:         46
        .size:           2
        .value_kind:     hidden_remainder_z
      - .offset:         64
        .size:           8
        .value_kind:     hidden_global_offset_x
      - .offset:         72
        .size:           8
        .value_kind:     hidden_global_offset_y
      - .offset:         80
        .size:           8
        .value_kind:     hidden_global_offset_z
      - .offset:         88
        .size:           2
        .value_kind:     hidden_grid_dims
    .group_segment_fixed_size: 120
    .kernarg_segment_align: 8
    .kernarg_segment_size: 280
    .language:       OpenCL C
    .language_version:
      - 2
      - 0
    .max_flat_workgroup_size: 256
    .name:           _Z6kernelI14inclusive_scandLj15ELj100EEvPKT0_PS1_S1_
    .private_segment_fixed_size: 0
    .sgpr_count:     18
    .sgpr_spill_count: 0
    .symbol:         _Z6kernelI14inclusive_scandLj15ELj100EEvPKT0_PS1_S1_.kd
    .uniform_work_group_size: 1
    .uses_dynamic_stack: false
    .vgpr_count:     11
    .vgpr_spill_count: 0
    .wavefront_size: 32
    .workgroup_processor_mode: 1
  - .args:
      - .address_space:  global
        .offset:         0
        .size:           8
        .value_kind:     global_buffer
      - .address_space:  global
        .offset:         8
        .size:           8
        .value_kind:     global_buffer
      - .offset:         16
        .size:           1
        .value_kind:     by_value
      - .offset:         24
        .size:           4
        .value_kind:     hidden_block_count_x
      - .offset:         28
        .size:           4
        .value_kind:     hidden_block_count_y
      - .offset:         32
        .size:           4
        .value_kind:     hidden_block_count_z
      - .offset:         36
        .size:           2
        .value_kind:     hidden_group_size_x
      - .offset:         38
        .size:           2
        .value_kind:     hidden_group_size_y
      - .offset:         40
        .size:           2
        .value_kind:     hidden_group_size_z
      - .offset:         42
        .size:           2
        .value_kind:     hidden_remainder_x
      - .offset:         44
        .size:           2
        .value_kind:     hidden_remainder_y
      - .offset:         46
        .size:           2
        .value_kind:     hidden_remainder_z
      - .offset:         64
        .size:           8
        .value_kind:     hidden_global_offset_x
      - .offset:         72
        .size:           8
        .value_kind:     hidden_global_offset_y
      - .offset:         80
        .size:           8
        .value_kind:     hidden_global_offset_z
      - .offset:         88
        .size:           2
        .value_kind:     hidden_grid_dims
    .group_segment_fixed_size: 0
    .kernarg_segment_align: 8
    .kernarg_segment_size: 280
    .language:       OpenCL C
    .language_version:
      - 2
      - 0
    .max_flat_workgroup_size: 256
    .name:           _Z6kernelI14inclusive_scanaLj64ELj100EEvPKT0_PS1_S1_
    .private_segment_fixed_size: 0
    .sgpr_count:     16
    .sgpr_spill_count: 0
    .symbol:         _Z6kernelI14inclusive_scanaLj64ELj100EEvPKT0_PS1_S1_.kd
    .uniform_work_group_size: 1
    .uses_dynamic_stack: false
    .vgpr_count:     3
    .vgpr_spill_count: 0
    .wavefront_size: 32
    .workgroup_processor_mode: 1
  - .args:
      - .address_space:  global
        .offset:         0
        .size:           8
        .value_kind:     global_buffer
      - .address_space:  global
        .offset:         8
        .size:           8
        .value_kind:     global_buffer
      - .offset:         16
        .size:           1
        .value_kind:     by_value
      - .offset:         24
        .size:           4
        .value_kind:     hidden_block_count_x
      - .offset:         28
        .size:           4
        .value_kind:     hidden_block_count_y
      - .offset:         32
        .size:           4
        .value_kind:     hidden_block_count_z
      - .offset:         36
        .size:           2
        .value_kind:     hidden_group_size_x
      - .offset:         38
        .size:           2
        .value_kind:     hidden_group_size_y
      - .offset:         40
        .size:           2
        .value_kind:     hidden_group_size_z
      - .offset:         42
        .size:           2
        .value_kind:     hidden_remainder_x
      - .offset:         44
        .size:           2
        .value_kind:     hidden_remainder_y
      - .offset:         46
        .size:           2
        .value_kind:     hidden_remainder_z
      - .offset:         64
        .size:           8
        .value_kind:     hidden_global_offset_x
      - .offset:         72
        .size:           8
        .value_kind:     hidden_global_offset_y
      - .offset:         80
        .size:           8
        .value_kind:     hidden_global_offset_z
      - .offset:         88
        .size:           2
        .value_kind:     hidden_grid_dims
    .group_segment_fixed_size: 0
    .kernarg_segment_align: 8
    .kernarg_segment_size: 280
    .language:       OpenCL C
    .language_version:
      - 2
      - 0
    .max_flat_workgroup_size: 256
    .name:           _Z6kernelI14inclusive_scanaLj32ELj100EEvPKT0_PS1_S1_
    .private_segment_fixed_size: 0
    .sgpr_count:     18
    .sgpr_spill_count: 0
    .symbol:         _Z6kernelI14inclusive_scanaLj32ELj100EEvPKT0_PS1_S1_.kd
    .uniform_work_group_size: 1
    .uses_dynamic_stack: false
    .vgpr_count:     4
    .vgpr_spill_count: 0
    .wavefront_size: 32
    .workgroup_processor_mode: 1
  - .args:
      - .address_space:  global
        .offset:         0
        .size:           8
        .value_kind:     global_buffer
      - .address_space:  global
        .offset:         8
        .size:           8
        .value_kind:     global_buffer
      - .offset:         16
        .size:           1
        .value_kind:     by_value
      - .offset:         24
        .size:           4
        .value_kind:     hidden_block_count_x
      - .offset:         28
        .size:           4
        .value_kind:     hidden_block_count_y
      - .offset:         32
        .size:           4
        .value_kind:     hidden_block_count_z
      - .offset:         36
        .size:           2
        .value_kind:     hidden_group_size_x
      - .offset:         38
        .size:           2
        .value_kind:     hidden_group_size_y
      - .offset:         40
        .size:           2
        .value_kind:     hidden_group_size_z
      - .offset:         42
        .size:           2
        .value_kind:     hidden_remainder_x
      - .offset:         44
        .size:           2
        .value_kind:     hidden_remainder_y
      - .offset:         46
        .size:           2
        .value_kind:     hidden_remainder_z
      - .offset:         64
        .size:           8
        .value_kind:     hidden_global_offset_x
      - .offset:         72
        .size:           8
        .value_kind:     hidden_global_offset_y
      - .offset:         80
        .size:           8
        .value_kind:     hidden_global_offset_z
      - .offset:         88
        .size:           2
        .value_kind:     hidden_grid_dims
    .group_segment_fixed_size: 0
    .kernarg_segment_align: 8
    .kernarg_segment_size: 280
    .language:       OpenCL C
    .language_version:
      - 2
      - 0
    .max_flat_workgroup_size: 256
    .name:           _Z6kernelI14inclusive_scanaLj16ELj100EEvPKT0_PS1_S1_
    .private_segment_fixed_size: 0
    .sgpr_count:     18
    .sgpr_spill_count: 0
    .symbol:         _Z6kernelI14inclusive_scanaLj16ELj100EEvPKT0_PS1_S1_.kd
    .uniform_work_group_size: 1
    .uses_dynamic_stack: false
    .vgpr_count:     3
    .vgpr_spill_count: 0
    .wavefront_size: 32
    .workgroup_processor_mode: 1
  - .args:
      - .address_space:  global
        .offset:         0
        .size:           8
        .value_kind:     global_buffer
      - .address_space:  global
        .offset:         8
        .size:           8
        .value_kind:     global_buffer
      - .offset:         16
        .size:           1
        .value_kind:     by_value
      - .offset:         24
        .size:           4
        .value_kind:     hidden_block_count_x
      - .offset:         28
        .size:           4
        .value_kind:     hidden_block_count_y
      - .offset:         32
        .size:           4
        .value_kind:     hidden_block_count_z
      - .offset:         36
        .size:           2
        .value_kind:     hidden_group_size_x
      - .offset:         38
        .size:           2
        .value_kind:     hidden_group_size_y
      - .offset:         40
        .size:           2
        .value_kind:     hidden_group_size_z
      - .offset:         42
        .size:           2
        .value_kind:     hidden_remainder_x
      - .offset:         44
        .size:           2
        .value_kind:     hidden_remainder_y
      - .offset:         46
        .size:           2
        .value_kind:     hidden_remainder_z
      - .offset:         64
        .size:           8
        .value_kind:     hidden_global_offset_x
      - .offset:         72
        .size:           8
        .value_kind:     hidden_global_offset_y
      - .offset:         80
        .size:           8
        .value_kind:     hidden_global_offset_z
      - .offset:         88
        .size:           2
        .value_kind:     hidden_grid_dims
    .group_segment_fixed_size: 0
    .kernarg_segment_align: 8
    .kernarg_segment_size: 280
    .language:       OpenCL C
    .language_version:
      - 2
      - 0
    .max_flat_workgroup_size: 256
    .name:           _Z6kernelI14inclusive_scanaLj63ELj100EEvPKT0_PS1_S1_
    .private_segment_fixed_size: 0
    .sgpr_count:     16
    .sgpr_spill_count: 0
    .symbol:         _Z6kernelI14inclusive_scanaLj63ELj100EEvPKT0_PS1_S1_.kd
    .uniform_work_group_size: 1
    .uses_dynamic_stack: false
    .vgpr_count:     3
    .vgpr_spill_count: 0
    .wavefront_size: 32
    .workgroup_processor_mode: 1
  - .args:
      - .address_space:  global
        .offset:         0
        .size:           8
        .value_kind:     global_buffer
      - .address_space:  global
        .offset:         8
        .size:           8
        .value_kind:     global_buffer
      - .offset:         16
        .size:           1
        .value_kind:     by_value
      - .offset:         24
        .size:           4
        .value_kind:     hidden_block_count_x
      - .offset:         28
        .size:           4
        .value_kind:     hidden_block_count_y
      - .offset:         32
        .size:           4
        .value_kind:     hidden_block_count_z
      - .offset:         36
        .size:           2
        .value_kind:     hidden_group_size_x
      - .offset:         38
        .size:           2
        .value_kind:     hidden_group_size_y
      - .offset:         40
        .size:           2
        .value_kind:     hidden_group_size_z
      - .offset:         42
        .size:           2
        .value_kind:     hidden_remainder_x
      - .offset:         44
        .size:           2
        .value_kind:     hidden_remainder_y
      - .offset:         46
        .size:           2
        .value_kind:     hidden_remainder_z
      - .offset:         64
        .size:           8
        .value_kind:     hidden_global_offset_x
      - .offset:         72
        .size:           8
        .value_kind:     hidden_global_offset_y
      - .offset:         80
        .size:           8
        .value_kind:     hidden_global_offset_z
      - .offset:         88
        .size:           2
        .value_kind:     hidden_grid_dims
    .group_segment_fixed_size: 31
    .kernarg_segment_align: 8
    .kernarg_segment_size: 280
    .language:       OpenCL C
    .language_version:
      - 2
      - 0
    .max_flat_workgroup_size: 256
    .name:           _Z6kernelI14inclusive_scanaLj31ELj100EEvPKT0_PS1_S1_
    .private_segment_fixed_size: 0
    .sgpr_count:     18
    .sgpr_spill_count: 0
    .symbol:         _Z6kernelI14inclusive_scanaLj31ELj100EEvPKT0_PS1_S1_.kd
    .uniform_work_group_size: 1
    .uses_dynamic_stack: false
    .vgpr_count:     9
    .vgpr_spill_count: 0
    .wavefront_size: 32
    .workgroup_processor_mode: 1
  - .args:
      - .address_space:  global
        .offset:         0
        .size:           8
        .value_kind:     global_buffer
      - .address_space:  global
        .offset:         8
        .size:           8
        .value_kind:     global_buffer
      - .offset:         16
        .size:           1
        .value_kind:     by_value
      - .offset:         24
        .size:           4
        .value_kind:     hidden_block_count_x
      - .offset:         28
        .size:           4
        .value_kind:     hidden_block_count_y
      - .offset:         32
        .size:           4
        .value_kind:     hidden_block_count_z
      - .offset:         36
        .size:           2
        .value_kind:     hidden_group_size_x
      - .offset:         38
        .size:           2
        .value_kind:     hidden_group_size_y
      - .offset:         40
        .size:           2
        .value_kind:     hidden_group_size_z
      - .offset:         42
        .size:           2
        .value_kind:     hidden_remainder_x
      - .offset:         44
        .size:           2
        .value_kind:     hidden_remainder_y
      - .offset:         46
        .size:           2
        .value_kind:     hidden_remainder_z
      - .offset:         64
        .size:           8
        .value_kind:     hidden_global_offset_x
      - .offset:         72
        .size:           8
        .value_kind:     hidden_global_offset_y
      - .offset:         80
        .size:           8
        .value_kind:     hidden_global_offset_z
      - .offset:         88
        .size:           2
        .value_kind:     hidden_grid_dims
    .group_segment_fixed_size: 15
    .kernarg_segment_align: 8
    .kernarg_segment_size: 280
    .language:       OpenCL C
    .language_version:
      - 2
      - 0
    .max_flat_workgroup_size: 256
    .name:           _Z6kernelI14inclusive_scanaLj15ELj100EEvPKT0_PS1_S1_
    .private_segment_fixed_size: 0
    .sgpr_count:     18
    .sgpr_spill_count: 0
    .symbol:         _Z6kernelI14inclusive_scanaLj15ELj100EEvPKT0_PS1_S1_.kd
    .uniform_work_group_size: 1
    .uses_dynamic_stack: false
    .vgpr_count:     8
    .vgpr_spill_count: 0
    .wavefront_size: 32
    .workgroup_processor_mode: 1
  - .args:
      - .address_space:  global
        .offset:         0
        .size:           8
        .value_kind:     global_buffer
      - .address_space:  global
        .offset:         8
        .size:           8
        .value_kind:     global_buffer
      - .offset:         16
        .size:           1
        .value_kind:     by_value
      - .offset:         24
        .size:           4
        .value_kind:     hidden_block_count_x
      - .offset:         28
        .size:           4
        .value_kind:     hidden_block_count_y
      - .offset:         32
        .size:           4
        .value_kind:     hidden_block_count_z
      - .offset:         36
        .size:           2
        .value_kind:     hidden_group_size_x
      - .offset:         38
        .size:           2
        .value_kind:     hidden_group_size_y
      - .offset:         40
        .size:           2
        .value_kind:     hidden_group_size_z
      - .offset:         42
        .size:           2
        .value_kind:     hidden_remainder_x
      - .offset:         44
        .size:           2
        .value_kind:     hidden_remainder_y
      - .offset:         46
        .size:           2
        .value_kind:     hidden_remainder_z
      - .offset:         64
        .size:           8
        .value_kind:     hidden_global_offset_x
      - .offset:         72
        .size:           8
        .value_kind:     hidden_global_offset_y
      - .offset:         80
        .size:           8
        .value_kind:     hidden_global_offset_z
      - .offset:         88
        .size:           2
        .value_kind:     hidden_grid_dims
    .group_segment_fixed_size: 0
    .kernarg_segment_align: 8
    .kernarg_segment_size: 280
    .language:       OpenCL C
    .language_version:
      - 2
      - 0
    .max_flat_workgroup_size: 256
    .name:           _Z6kernelI14inclusive_scanhLj64ELj100EEvPKT0_PS1_S1_
    .private_segment_fixed_size: 0
    .sgpr_count:     16
    .sgpr_spill_count: 0
    .symbol:         _Z6kernelI14inclusive_scanhLj64ELj100EEvPKT0_PS1_S1_.kd
    .uniform_work_group_size: 1
    .uses_dynamic_stack: false
    .vgpr_count:     3
    .vgpr_spill_count: 0
    .wavefront_size: 32
    .workgroup_processor_mode: 1
  - .args:
      - .address_space:  global
        .offset:         0
        .size:           8
        .value_kind:     global_buffer
      - .address_space:  global
        .offset:         8
        .size:           8
        .value_kind:     global_buffer
      - .offset:         16
        .size:           1
        .value_kind:     by_value
      - .offset:         24
        .size:           4
        .value_kind:     hidden_block_count_x
      - .offset:         28
        .size:           4
        .value_kind:     hidden_block_count_y
      - .offset:         32
        .size:           4
        .value_kind:     hidden_block_count_z
      - .offset:         36
        .size:           2
        .value_kind:     hidden_group_size_x
      - .offset:         38
        .size:           2
        .value_kind:     hidden_group_size_y
      - .offset:         40
        .size:           2
        .value_kind:     hidden_group_size_z
      - .offset:         42
        .size:           2
        .value_kind:     hidden_remainder_x
      - .offset:         44
        .size:           2
        .value_kind:     hidden_remainder_y
      - .offset:         46
        .size:           2
        .value_kind:     hidden_remainder_z
      - .offset:         64
        .size:           8
        .value_kind:     hidden_global_offset_x
      - .offset:         72
        .size:           8
        .value_kind:     hidden_global_offset_y
      - .offset:         80
        .size:           8
        .value_kind:     hidden_global_offset_z
      - .offset:         88
        .size:           2
        .value_kind:     hidden_grid_dims
    .group_segment_fixed_size: 0
    .kernarg_segment_align: 8
    .kernarg_segment_size: 280
    .language:       OpenCL C
    .language_version:
      - 2
      - 0
    .max_flat_workgroup_size: 256
    .name:           _Z6kernelI14inclusive_scanhLj32ELj100EEvPKT0_PS1_S1_
    .private_segment_fixed_size: 0
    .sgpr_count:     18
    .sgpr_spill_count: 0
    .symbol:         _Z6kernelI14inclusive_scanhLj32ELj100EEvPKT0_PS1_S1_.kd
    .uniform_work_group_size: 1
    .uses_dynamic_stack: false
    .vgpr_count:     4
    .vgpr_spill_count: 0
    .wavefront_size: 32
    .workgroup_processor_mode: 1
  - .args:
      - .address_space:  global
        .offset:         0
        .size:           8
        .value_kind:     global_buffer
      - .address_space:  global
        .offset:         8
        .size:           8
        .value_kind:     global_buffer
      - .offset:         16
        .size:           1
        .value_kind:     by_value
      - .offset:         24
        .size:           4
        .value_kind:     hidden_block_count_x
      - .offset:         28
        .size:           4
        .value_kind:     hidden_block_count_y
      - .offset:         32
        .size:           4
        .value_kind:     hidden_block_count_z
      - .offset:         36
        .size:           2
        .value_kind:     hidden_group_size_x
      - .offset:         38
        .size:           2
        .value_kind:     hidden_group_size_y
      - .offset:         40
        .size:           2
        .value_kind:     hidden_group_size_z
      - .offset:         42
        .size:           2
        .value_kind:     hidden_remainder_x
      - .offset:         44
        .size:           2
        .value_kind:     hidden_remainder_y
      - .offset:         46
        .size:           2
        .value_kind:     hidden_remainder_z
      - .offset:         64
        .size:           8
        .value_kind:     hidden_global_offset_x
      - .offset:         72
        .size:           8
        .value_kind:     hidden_global_offset_y
      - .offset:         80
        .size:           8
        .value_kind:     hidden_global_offset_z
      - .offset:         88
        .size:           2
        .value_kind:     hidden_grid_dims
    .group_segment_fixed_size: 0
    .kernarg_segment_align: 8
    .kernarg_segment_size: 280
    .language:       OpenCL C
    .language_version:
      - 2
      - 0
    .max_flat_workgroup_size: 256
    .name:           _Z6kernelI14inclusive_scanhLj16ELj100EEvPKT0_PS1_S1_
    .private_segment_fixed_size: 0
    .sgpr_count:     18
    .sgpr_spill_count: 0
    .symbol:         _Z6kernelI14inclusive_scanhLj16ELj100EEvPKT0_PS1_S1_.kd
    .uniform_work_group_size: 1
    .uses_dynamic_stack: false
    .vgpr_count:     3
    .vgpr_spill_count: 0
    .wavefront_size: 32
    .workgroup_processor_mode: 1
  - .args:
      - .address_space:  global
        .offset:         0
        .size:           8
        .value_kind:     global_buffer
      - .address_space:  global
        .offset:         8
        .size:           8
        .value_kind:     global_buffer
      - .offset:         16
        .size:           1
        .value_kind:     by_value
      - .offset:         24
        .size:           4
        .value_kind:     hidden_block_count_x
      - .offset:         28
        .size:           4
        .value_kind:     hidden_block_count_y
      - .offset:         32
        .size:           4
        .value_kind:     hidden_block_count_z
      - .offset:         36
        .size:           2
        .value_kind:     hidden_group_size_x
      - .offset:         38
        .size:           2
        .value_kind:     hidden_group_size_y
      - .offset:         40
        .size:           2
        .value_kind:     hidden_group_size_z
      - .offset:         42
        .size:           2
        .value_kind:     hidden_remainder_x
      - .offset:         44
        .size:           2
        .value_kind:     hidden_remainder_y
      - .offset:         46
        .size:           2
        .value_kind:     hidden_remainder_z
      - .offset:         64
        .size:           8
        .value_kind:     hidden_global_offset_x
      - .offset:         72
        .size:           8
        .value_kind:     hidden_global_offset_y
      - .offset:         80
        .size:           8
        .value_kind:     hidden_global_offset_z
      - .offset:         88
        .size:           2
        .value_kind:     hidden_grid_dims
    .group_segment_fixed_size: 0
    .kernarg_segment_align: 8
    .kernarg_segment_size: 280
    .language:       OpenCL C
    .language_version:
      - 2
      - 0
    .max_flat_workgroup_size: 256
    .name:           _Z6kernelI14inclusive_scanhLj63ELj100EEvPKT0_PS1_S1_
    .private_segment_fixed_size: 0
    .sgpr_count:     16
    .sgpr_spill_count: 0
    .symbol:         _Z6kernelI14inclusive_scanhLj63ELj100EEvPKT0_PS1_S1_.kd
    .uniform_work_group_size: 1
    .uses_dynamic_stack: false
    .vgpr_count:     3
    .vgpr_spill_count: 0
    .wavefront_size: 32
    .workgroup_processor_mode: 1
  - .args:
      - .address_space:  global
        .offset:         0
        .size:           8
        .value_kind:     global_buffer
      - .address_space:  global
        .offset:         8
        .size:           8
        .value_kind:     global_buffer
      - .offset:         16
        .size:           1
        .value_kind:     by_value
      - .offset:         24
        .size:           4
        .value_kind:     hidden_block_count_x
      - .offset:         28
        .size:           4
        .value_kind:     hidden_block_count_y
      - .offset:         32
        .size:           4
        .value_kind:     hidden_block_count_z
      - .offset:         36
        .size:           2
        .value_kind:     hidden_group_size_x
      - .offset:         38
        .size:           2
        .value_kind:     hidden_group_size_y
      - .offset:         40
        .size:           2
        .value_kind:     hidden_group_size_z
      - .offset:         42
        .size:           2
        .value_kind:     hidden_remainder_x
      - .offset:         44
        .size:           2
        .value_kind:     hidden_remainder_y
      - .offset:         46
        .size:           2
        .value_kind:     hidden_remainder_z
      - .offset:         64
        .size:           8
        .value_kind:     hidden_global_offset_x
      - .offset:         72
        .size:           8
        .value_kind:     hidden_global_offset_y
      - .offset:         80
        .size:           8
        .value_kind:     hidden_global_offset_z
      - .offset:         88
        .size:           2
        .value_kind:     hidden_grid_dims
    .group_segment_fixed_size: 31
    .kernarg_segment_align: 8
    .kernarg_segment_size: 280
    .language:       OpenCL C
    .language_version:
      - 2
      - 0
    .max_flat_workgroup_size: 256
    .name:           _Z6kernelI14inclusive_scanhLj31ELj100EEvPKT0_PS1_S1_
    .private_segment_fixed_size: 0
    .sgpr_count:     18
    .sgpr_spill_count: 0
    .symbol:         _Z6kernelI14inclusive_scanhLj31ELj100EEvPKT0_PS1_S1_.kd
    .uniform_work_group_size: 1
    .uses_dynamic_stack: false
    .vgpr_count:     9
    .vgpr_spill_count: 0
    .wavefront_size: 32
    .workgroup_processor_mode: 1
  - .args:
      - .address_space:  global
        .offset:         0
        .size:           8
        .value_kind:     global_buffer
      - .address_space:  global
        .offset:         8
        .size:           8
        .value_kind:     global_buffer
      - .offset:         16
        .size:           1
        .value_kind:     by_value
      - .offset:         24
        .size:           4
        .value_kind:     hidden_block_count_x
      - .offset:         28
        .size:           4
        .value_kind:     hidden_block_count_y
      - .offset:         32
        .size:           4
        .value_kind:     hidden_block_count_z
      - .offset:         36
        .size:           2
        .value_kind:     hidden_group_size_x
      - .offset:         38
        .size:           2
        .value_kind:     hidden_group_size_y
      - .offset:         40
        .size:           2
        .value_kind:     hidden_group_size_z
      - .offset:         42
        .size:           2
        .value_kind:     hidden_remainder_x
      - .offset:         44
        .size:           2
        .value_kind:     hidden_remainder_y
      - .offset:         46
        .size:           2
        .value_kind:     hidden_remainder_z
      - .offset:         64
        .size:           8
        .value_kind:     hidden_global_offset_x
      - .offset:         72
        .size:           8
        .value_kind:     hidden_global_offset_y
      - .offset:         80
        .size:           8
        .value_kind:     hidden_global_offset_z
      - .offset:         88
        .size:           2
        .value_kind:     hidden_grid_dims
    .group_segment_fixed_size: 15
    .kernarg_segment_align: 8
    .kernarg_segment_size: 280
    .language:       OpenCL C
    .language_version:
      - 2
      - 0
    .max_flat_workgroup_size: 256
    .name:           _Z6kernelI14inclusive_scanhLj15ELj100EEvPKT0_PS1_S1_
    .private_segment_fixed_size: 0
    .sgpr_count:     18
    .sgpr_spill_count: 0
    .symbol:         _Z6kernelI14inclusive_scanhLj15ELj100EEvPKT0_PS1_S1_.kd
    .uniform_work_group_size: 1
    .uses_dynamic_stack: false
    .vgpr_count:     8
    .vgpr_spill_count: 0
    .wavefront_size: 32
    .workgroup_processor_mode: 1
  - .args:
      - .address_space:  global
        .offset:         0
        .size:           8
        .value_kind:     global_buffer
      - .address_space:  global
        .offset:         8
        .size:           8
        .value_kind:     global_buffer
      - .offset:         16
        .size:           2
        .value_kind:     by_value
      - .offset:         24
        .size:           4
        .value_kind:     hidden_block_count_x
      - .offset:         28
        .size:           4
        .value_kind:     hidden_block_count_y
      - .offset:         32
        .size:           4
        .value_kind:     hidden_block_count_z
      - .offset:         36
        .size:           2
        .value_kind:     hidden_group_size_x
      - .offset:         38
        .size:           2
        .value_kind:     hidden_group_size_y
      - .offset:         40
        .size:           2
        .value_kind:     hidden_group_size_z
      - .offset:         42
        .size:           2
        .value_kind:     hidden_remainder_x
      - .offset:         44
        .size:           2
        .value_kind:     hidden_remainder_y
      - .offset:         46
        .size:           2
        .value_kind:     hidden_remainder_z
      - .offset:         64
        .size:           8
        .value_kind:     hidden_global_offset_x
      - .offset:         72
        .size:           8
        .value_kind:     hidden_global_offset_y
      - .offset:         80
        .size:           8
        .value_kind:     hidden_global_offset_z
      - .offset:         88
        .size:           2
        .value_kind:     hidden_grid_dims
    .group_segment_fixed_size: 0
    .kernarg_segment_align: 8
    .kernarg_segment_size: 280
    .language:       OpenCL C
    .language_version:
      - 2
      - 0
    .max_flat_workgroup_size: 256
    .name:           _Z6kernelI14inclusive_scan6__halfLj64ELj100EEvPKT0_PS2_S2_
    .private_segment_fixed_size: 0
    .sgpr_count:     18
    .sgpr_spill_count: 0
    .symbol:         _Z6kernelI14inclusive_scan6__halfLj64ELj100EEvPKT0_PS2_S2_.kd
    .uniform_work_group_size: 1
    .uses_dynamic_stack: false
    .vgpr_count:     4
    .vgpr_spill_count: 0
    .wavefront_size: 32
    .workgroup_processor_mode: 1
  - .args:
      - .address_space:  global
        .offset:         0
        .size:           8
        .value_kind:     global_buffer
      - .address_space:  global
        .offset:         8
        .size:           8
        .value_kind:     global_buffer
      - .offset:         16
        .size:           2
        .value_kind:     by_value
      - .offset:         24
        .size:           4
        .value_kind:     hidden_block_count_x
      - .offset:         28
        .size:           4
        .value_kind:     hidden_block_count_y
      - .offset:         32
        .size:           4
        .value_kind:     hidden_block_count_z
      - .offset:         36
        .size:           2
        .value_kind:     hidden_group_size_x
      - .offset:         38
        .size:           2
        .value_kind:     hidden_group_size_y
      - .offset:         40
        .size:           2
        .value_kind:     hidden_group_size_z
      - .offset:         42
        .size:           2
        .value_kind:     hidden_remainder_x
      - .offset:         44
        .size:           2
        .value_kind:     hidden_remainder_y
      - .offset:         46
        .size:           2
        .value_kind:     hidden_remainder_z
      - .offset:         64
        .size:           8
        .value_kind:     hidden_global_offset_x
      - .offset:         72
        .size:           8
        .value_kind:     hidden_global_offset_y
      - .offset:         80
        .size:           8
        .value_kind:     hidden_global_offset_z
      - .offset:         88
        .size:           2
        .value_kind:     hidden_grid_dims
    .group_segment_fixed_size: 0
    .kernarg_segment_align: 8
    .kernarg_segment_size: 280
    .language:       OpenCL C
    .language_version:
      - 2
      - 0
    .max_flat_workgroup_size: 256
    .name:           _Z6kernelI14inclusive_scan6__halfLj32ELj100EEvPKT0_PS2_S2_
    .private_segment_fixed_size: 0
    .sgpr_count:     18
    .sgpr_spill_count: 0
    .symbol:         _Z6kernelI14inclusive_scan6__halfLj32ELj100EEvPKT0_PS2_S2_.kd
    .uniform_work_group_size: 1
    .uses_dynamic_stack: false
    .vgpr_count:     5
    .vgpr_spill_count: 0
    .wavefront_size: 32
    .workgroup_processor_mode: 1
  - .args:
      - .address_space:  global
        .offset:         0
        .size:           8
        .value_kind:     global_buffer
      - .address_space:  global
        .offset:         8
        .size:           8
        .value_kind:     global_buffer
      - .offset:         16
        .size:           2
        .value_kind:     by_value
      - .offset:         24
        .size:           4
        .value_kind:     hidden_block_count_x
      - .offset:         28
        .size:           4
        .value_kind:     hidden_block_count_y
      - .offset:         32
        .size:           4
        .value_kind:     hidden_block_count_z
      - .offset:         36
        .size:           2
        .value_kind:     hidden_group_size_x
      - .offset:         38
        .size:           2
        .value_kind:     hidden_group_size_y
      - .offset:         40
        .size:           2
        .value_kind:     hidden_group_size_z
      - .offset:         42
        .size:           2
        .value_kind:     hidden_remainder_x
      - .offset:         44
        .size:           2
        .value_kind:     hidden_remainder_y
      - .offset:         46
        .size:           2
        .value_kind:     hidden_remainder_z
      - .offset:         64
        .size:           8
        .value_kind:     hidden_global_offset_x
      - .offset:         72
        .size:           8
        .value_kind:     hidden_global_offset_y
      - .offset:         80
        .size:           8
        .value_kind:     hidden_global_offset_z
      - .offset:         88
        .size:           2
        .value_kind:     hidden_grid_dims
    .group_segment_fixed_size: 0
    .kernarg_segment_align: 8
    .kernarg_segment_size: 280
    .language:       OpenCL C
    .language_version:
      - 2
      - 0
    .max_flat_workgroup_size: 256
    .name:           _Z6kernelI14inclusive_scan6__halfLj16ELj100EEvPKT0_PS2_S2_
    .private_segment_fixed_size: 0
    .sgpr_count:     18
    .sgpr_spill_count: 0
    .symbol:         _Z6kernelI14inclusive_scan6__halfLj16ELj100EEvPKT0_PS2_S2_.kd
    .uniform_work_group_size: 1
    .uses_dynamic_stack: false
    .vgpr_count:     4
    .vgpr_spill_count: 0
    .wavefront_size: 32
    .workgroup_processor_mode: 1
  - .args:
      - .address_space:  global
        .offset:         0
        .size:           8
        .value_kind:     global_buffer
      - .address_space:  global
        .offset:         8
        .size:           8
        .value_kind:     global_buffer
      - .offset:         16
        .size:           2
        .value_kind:     by_value
      - .offset:         24
        .size:           4
        .value_kind:     hidden_block_count_x
      - .offset:         28
        .size:           4
        .value_kind:     hidden_block_count_y
      - .offset:         32
        .size:           4
        .value_kind:     hidden_block_count_z
      - .offset:         36
        .size:           2
        .value_kind:     hidden_group_size_x
      - .offset:         38
        .size:           2
        .value_kind:     hidden_group_size_y
      - .offset:         40
        .size:           2
        .value_kind:     hidden_group_size_z
      - .offset:         42
        .size:           2
        .value_kind:     hidden_remainder_x
      - .offset:         44
        .size:           2
        .value_kind:     hidden_remainder_y
      - .offset:         46
        .size:           2
        .value_kind:     hidden_remainder_z
      - .offset:         64
        .size:           8
        .value_kind:     hidden_global_offset_x
      - .offset:         72
        .size:           8
        .value_kind:     hidden_global_offset_y
      - .offset:         80
        .size:           8
        .value_kind:     hidden_global_offset_z
      - .offset:         88
        .size:           2
        .value_kind:     hidden_grid_dims
    .group_segment_fixed_size: 0
    .kernarg_segment_align: 8
    .kernarg_segment_size: 280
    .language:       OpenCL C
    .language_version:
      - 2
      - 0
    .max_flat_workgroup_size: 256
    .name:           _Z6kernelI14inclusive_scan6__halfLj63ELj100EEvPKT0_PS2_S2_
    .private_segment_fixed_size: 0
    .sgpr_count:     18
    .sgpr_spill_count: 0
    .symbol:         _Z6kernelI14inclusive_scan6__halfLj63ELj100EEvPKT0_PS2_S2_.kd
    .uniform_work_group_size: 1
    .uses_dynamic_stack: false
    .vgpr_count:     4
    .vgpr_spill_count: 0
    .wavefront_size: 32
    .workgroup_processor_mode: 1
  - .args:
      - .address_space:  global
        .offset:         0
        .size:           8
        .value_kind:     global_buffer
      - .address_space:  global
        .offset:         8
        .size:           8
        .value_kind:     global_buffer
      - .offset:         16
        .size:           2
        .value_kind:     by_value
      - .offset:         24
        .size:           4
        .value_kind:     hidden_block_count_x
      - .offset:         28
        .size:           4
        .value_kind:     hidden_block_count_y
      - .offset:         32
        .size:           4
        .value_kind:     hidden_block_count_z
      - .offset:         36
        .size:           2
        .value_kind:     hidden_group_size_x
      - .offset:         38
        .size:           2
        .value_kind:     hidden_group_size_y
      - .offset:         40
        .size:           2
        .value_kind:     hidden_group_size_z
      - .offset:         42
        .size:           2
        .value_kind:     hidden_remainder_x
      - .offset:         44
        .size:           2
        .value_kind:     hidden_remainder_y
      - .offset:         46
        .size:           2
        .value_kind:     hidden_remainder_z
      - .offset:         64
        .size:           8
        .value_kind:     hidden_global_offset_x
      - .offset:         72
        .size:           8
        .value_kind:     hidden_global_offset_y
      - .offset:         80
        .size:           8
        .value_kind:     hidden_global_offset_z
      - .offset:         88
        .size:           2
        .value_kind:     hidden_grid_dims
    .group_segment_fixed_size: 62
    .kernarg_segment_align: 8
    .kernarg_segment_size: 280
    .language:       OpenCL C
    .language_version:
      - 2
      - 0
    .max_flat_workgroup_size: 256
    .name:           _Z6kernelI14inclusive_scan6__halfLj31ELj100EEvPKT0_PS2_S2_
    .private_segment_fixed_size: 0
    .sgpr_count:     18
    .sgpr_spill_count: 0
    .symbol:         _Z6kernelI14inclusive_scan6__halfLj31ELj100EEvPKT0_PS2_S2_.kd
    .uniform_work_group_size: 1
    .uses_dynamic_stack: false
    .vgpr_count:     10
    .vgpr_spill_count: 0
    .wavefront_size: 32
    .workgroup_processor_mode: 1
  - .args:
      - .address_space:  global
        .offset:         0
        .size:           8
        .value_kind:     global_buffer
      - .address_space:  global
        .offset:         8
        .size:           8
        .value_kind:     global_buffer
      - .offset:         16
        .size:           2
        .value_kind:     by_value
      - .offset:         24
        .size:           4
        .value_kind:     hidden_block_count_x
      - .offset:         28
        .size:           4
        .value_kind:     hidden_block_count_y
      - .offset:         32
        .size:           4
        .value_kind:     hidden_block_count_z
      - .offset:         36
        .size:           2
        .value_kind:     hidden_group_size_x
      - .offset:         38
        .size:           2
        .value_kind:     hidden_group_size_y
      - .offset:         40
        .size:           2
        .value_kind:     hidden_group_size_z
      - .offset:         42
        .size:           2
        .value_kind:     hidden_remainder_x
      - .offset:         44
        .size:           2
        .value_kind:     hidden_remainder_y
      - .offset:         46
        .size:           2
        .value_kind:     hidden_remainder_z
      - .offset:         64
        .size:           8
        .value_kind:     hidden_global_offset_x
      - .offset:         72
        .size:           8
        .value_kind:     hidden_global_offset_y
      - .offset:         80
        .size:           8
        .value_kind:     hidden_global_offset_z
      - .offset:         88
        .size:           2
        .value_kind:     hidden_grid_dims
    .group_segment_fixed_size: 30
    .kernarg_segment_align: 8
    .kernarg_segment_size: 280
    .language:       OpenCL C
    .language_version:
      - 2
      - 0
    .max_flat_workgroup_size: 256
    .name:           _Z6kernelI14inclusive_scan6__halfLj15ELj100EEvPKT0_PS2_S2_
    .private_segment_fixed_size: 0
    .sgpr_count:     18
    .sgpr_spill_count: 0
    .symbol:         _Z6kernelI14inclusive_scan6__halfLj15ELj100EEvPKT0_PS2_S2_.kd
    .uniform_work_group_size: 1
    .uses_dynamic_stack: false
    .vgpr_count:     9
    .vgpr_spill_count: 0
    .wavefront_size: 32
    .workgroup_processor_mode: 1
  - .args:
      - .address_space:  global
        .offset:         0
        .size:           8
        .value_kind:     global_buffer
      - .address_space:  global
        .offset:         8
        .size:           8
        .value_kind:     global_buffer
      - .offset:         16
        .size:           16
        .value_kind:     by_value
      - .offset:         32
        .size:           4
        .value_kind:     hidden_block_count_x
      - .offset:         36
        .size:           4
        .value_kind:     hidden_block_count_y
      - .offset:         40
        .size:           4
        .value_kind:     hidden_block_count_z
      - .offset:         44
        .size:           2
        .value_kind:     hidden_group_size_x
      - .offset:         46
        .size:           2
        .value_kind:     hidden_group_size_y
      - .offset:         48
        .size:           2
        .value_kind:     hidden_group_size_z
      - .offset:         50
        .size:           2
        .value_kind:     hidden_remainder_x
      - .offset:         52
        .size:           2
        .value_kind:     hidden_remainder_y
      - .offset:         54
        .size:           2
        .value_kind:     hidden_remainder_z
      - .offset:         72
        .size:           8
        .value_kind:     hidden_global_offset_x
      - .offset:         80
        .size:           8
        .value_kind:     hidden_global_offset_y
      - .offset:         88
        .size:           8
        .value_kind:     hidden_global_offset_z
      - .offset:         96
        .size:           2
        .value_kind:     hidden_grid_dims
    .group_segment_fixed_size: 0
    .kernarg_segment_align: 8
    .kernarg_segment_size: 288
    .language:       OpenCL C
    .language_version:
      - 2
      - 0
    .max_flat_workgroup_size: 256
    .name:           _Z6kernelI14inclusive_scanN6common11custom_typeIddLb0EEELj64ELj100EEvPKT0_PS4_S4_
    .private_segment_fixed_size: 0
    .sgpr_count:     18
    .sgpr_spill_count: 0
    .symbol:         _Z6kernelI14inclusive_scanN6common11custom_typeIddLb0EEELj64ELj100EEvPKT0_PS4_S4_.kd
    .uniform_work_group_size: 1
    .uses_dynamic_stack: false
    .vgpr_count:     6
    .vgpr_spill_count: 0
    .wavefront_size: 32
    .workgroup_processor_mode: 1
  - .args:
      - .address_space:  global
        .offset:         0
        .size:           8
        .value_kind:     global_buffer
      - .address_space:  global
        .offset:         8
        .size:           8
        .value_kind:     global_buffer
      - .offset:         16
        .size:           16
        .value_kind:     by_value
      - .offset:         32
        .size:           4
        .value_kind:     hidden_block_count_x
      - .offset:         36
        .size:           4
        .value_kind:     hidden_block_count_y
      - .offset:         40
        .size:           4
        .value_kind:     hidden_block_count_z
      - .offset:         44
        .size:           2
        .value_kind:     hidden_group_size_x
      - .offset:         46
        .size:           2
        .value_kind:     hidden_group_size_y
      - .offset:         48
        .size:           2
        .value_kind:     hidden_group_size_z
      - .offset:         50
        .size:           2
        .value_kind:     hidden_remainder_x
      - .offset:         52
        .size:           2
        .value_kind:     hidden_remainder_y
      - .offset:         54
        .size:           2
        .value_kind:     hidden_remainder_z
      - .offset:         72
        .size:           8
        .value_kind:     hidden_global_offset_x
      - .offset:         80
        .size:           8
        .value_kind:     hidden_global_offset_y
      - .offset:         88
        .size:           8
        .value_kind:     hidden_global_offset_z
      - .offset:         96
        .size:           2
        .value_kind:     hidden_grid_dims
    .group_segment_fixed_size: 0
    .kernarg_segment_align: 8
    .kernarg_segment_size: 288
    .language:       OpenCL C
    .language_version:
      - 2
      - 0
    .max_flat_workgroup_size: 256
    .name:           _Z6kernelI14inclusive_scanN6common11custom_typeIddLb0EEELj32ELj100EEvPKT0_PS4_S4_
    .private_segment_fixed_size: 0
    .sgpr_count:     18
    .sgpr_spill_count: 0
    .symbol:         _Z6kernelI14inclusive_scanN6common11custom_typeIddLb0EEELj32ELj100EEvPKT0_PS4_S4_.kd
    .uniform_work_group_size: 1
    .uses_dynamic_stack: false
    .vgpr_count:     10
    .vgpr_spill_count: 0
    .wavefront_size: 32
    .workgroup_processor_mode: 1
  - .args:
      - .address_space:  global
        .offset:         0
        .size:           8
        .value_kind:     global_buffer
      - .address_space:  global
        .offset:         8
        .size:           8
        .value_kind:     global_buffer
      - .offset:         16
        .size:           16
        .value_kind:     by_value
      - .offset:         32
        .size:           4
        .value_kind:     hidden_block_count_x
      - .offset:         36
        .size:           4
        .value_kind:     hidden_block_count_y
      - .offset:         40
        .size:           4
        .value_kind:     hidden_block_count_z
      - .offset:         44
        .size:           2
        .value_kind:     hidden_group_size_x
      - .offset:         46
        .size:           2
        .value_kind:     hidden_group_size_y
      - .offset:         48
        .size:           2
        .value_kind:     hidden_group_size_z
      - .offset:         50
        .size:           2
        .value_kind:     hidden_remainder_x
      - .offset:         52
        .size:           2
        .value_kind:     hidden_remainder_y
      - .offset:         54
        .size:           2
        .value_kind:     hidden_remainder_z
      - .offset:         72
        .size:           8
        .value_kind:     hidden_global_offset_x
      - .offset:         80
        .size:           8
        .value_kind:     hidden_global_offset_y
      - .offset:         88
        .size:           8
        .value_kind:     hidden_global_offset_z
      - .offset:         96
        .size:           2
        .value_kind:     hidden_grid_dims
    .group_segment_fixed_size: 0
    .kernarg_segment_align: 8
    .kernarg_segment_size: 288
    .language:       OpenCL C
    .language_version:
      - 2
      - 0
    .max_flat_workgroup_size: 256
    .name:           _Z6kernelI14inclusive_scanN6common11custom_typeIddLb0EEELj16ELj100EEvPKT0_PS4_S4_
    .private_segment_fixed_size: 0
    .sgpr_count:     18
    .sgpr_spill_count: 0
    .symbol:         _Z6kernelI14inclusive_scanN6common11custom_typeIddLb0EEELj16ELj100EEvPKT0_PS4_S4_.kd
    .uniform_work_group_size: 1
    .uses_dynamic_stack: false
    .vgpr_count:     10
    .vgpr_spill_count: 0
    .wavefront_size: 32
    .workgroup_processor_mode: 1
  - .args:
      - .address_space:  global
        .offset:         0
        .size:           8
        .value_kind:     global_buffer
      - .address_space:  global
        .offset:         8
        .size:           8
        .value_kind:     global_buffer
      - .offset:         16
        .size:           16
        .value_kind:     by_value
      - .offset:         32
        .size:           4
        .value_kind:     hidden_block_count_x
      - .offset:         36
        .size:           4
        .value_kind:     hidden_block_count_y
      - .offset:         40
        .size:           4
        .value_kind:     hidden_block_count_z
      - .offset:         44
        .size:           2
        .value_kind:     hidden_group_size_x
      - .offset:         46
        .size:           2
        .value_kind:     hidden_group_size_y
      - .offset:         48
        .size:           2
        .value_kind:     hidden_group_size_z
      - .offset:         50
        .size:           2
        .value_kind:     hidden_remainder_x
      - .offset:         52
        .size:           2
        .value_kind:     hidden_remainder_y
      - .offset:         54
        .size:           2
        .value_kind:     hidden_remainder_z
      - .offset:         72
        .size:           8
        .value_kind:     hidden_global_offset_x
      - .offset:         80
        .size:           8
        .value_kind:     hidden_global_offset_y
      - .offset:         88
        .size:           8
        .value_kind:     hidden_global_offset_z
      - .offset:         96
        .size:           2
        .value_kind:     hidden_grid_dims
    .group_segment_fixed_size: 0
    .kernarg_segment_align: 8
    .kernarg_segment_size: 288
    .language:       OpenCL C
    .language_version:
      - 2
      - 0
    .max_flat_workgroup_size: 256
    .name:           _Z6kernelI14inclusive_scanN6common11custom_typeIddLb0EEELj63ELj100EEvPKT0_PS4_S4_
    .private_segment_fixed_size: 0
    .sgpr_count:     18
    .sgpr_spill_count: 0
    .symbol:         _Z6kernelI14inclusive_scanN6common11custom_typeIddLb0EEELj63ELj100EEvPKT0_PS4_S4_.kd
    .uniform_work_group_size: 1
    .uses_dynamic_stack: false
    .vgpr_count:     6
    .vgpr_spill_count: 0
    .wavefront_size: 32
    .workgroup_processor_mode: 1
  - .args:
      - .address_space:  global
        .offset:         0
        .size:           8
        .value_kind:     global_buffer
      - .address_space:  global
        .offset:         8
        .size:           8
        .value_kind:     global_buffer
      - .offset:         16
        .size:           16
        .value_kind:     by_value
      - .offset:         32
        .size:           4
        .value_kind:     hidden_block_count_x
      - .offset:         36
        .size:           4
        .value_kind:     hidden_block_count_y
      - .offset:         40
        .size:           4
        .value_kind:     hidden_block_count_z
      - .offset:         44
        .size:           2
        .value_kind:     hidden_group_size_x
      - .offset:         46
        .size:           2
        .value_kind:     hidden_group_size_y
      - .offset:         48
        .size:           2
        .value_kind:     hidden_group_size_z
      - .offset:         50
        .size:           2
        .value_kind:     hidden_remainder_x
      - .offset:         52
        .size:           2
        .value_kind:     hidden_remainder_y
      - .offset:         54
        .size:           2
        .value_kind:     hidden_remainder_z
      - .offset:         72
        .size:           8
        .value_kind:     hidden_global_offset_x
      - .offset:         80
        .size:           8
        .value_kind:     hidden_global_offset_y
      - .offset:         88
        .size:           8
        .value_kind:     hidden_global_offset_z
      - .offset:         96
        .size:           2
        .value_kind:     hidden_grid_dims
    .group_segment_fixed_size: 496
    .kernarg_segment_align: 8
    .kernarg_segment_size: 288
    .language:       OpenCL C
    .language_version:
      - 2
      - 0
    .max_flat_workgroup_size: 256
    .name:           _Z6kernelI14inclusive_scanN6common11custom_typeIddLb0EEELj31ELj100EEvPKT0_PS4_S4_
    .private_segment_fixed_size: 0
    .sgpr_count:     18
    .sgpr_spill_count: 0
    .symbol:         _Z6kernelI14inclusive_scanN6common11custom_typeIddLb0EEELj31ELj100EEvPKT0_PS4_S4_.kd
    .uniform_work_group_size: 1
    .uses_dynamic_stack: false
    .vgpr_count:     16
    .vgpr_spill_count: 0
    .wavefront_size: 32
    .workgroup_processor_mode: 1
  - .args:
      - .address_space:  global
        .offset:         0
        .size:           8
        .value_kind:     global_buffer
      - .address_space:  global
        .offset:         8
        .size:           8
        .value_kind:     global_buffer
      - .offset:         16
        .size:           16
        .value_kind:     by_value
      - .offset:         32
        .size:           4
        .value_kind:     hidden_block_count_x
      - .offset:         36
        .size:           4
        .value_kind:     hidden_block_count_y
      - .offset:         40
        .size:           4
        .value_kind:     hidden_block_count_z
      - .offset:         44
        .size:           2
        .value_kind:     hidden_group_size_x
      - .offset:         46
        .size:           2
        .value_kind:     hidden_group_size_y
      - .offset:         48
        .size:           2
        .value_kind:     hidden_group_size_z
      - .offset:         50
        .size:           2
        .value_kind:     hidden_remainder_x
      - .offset:         52
        .size:           2
        .value_kind:     hidden_remainder_y
      - .offset:         54
        .size:           2
        .value_kind:     hidden_remainder_z
      - .offset:         72
        .size:           8
        .value_kind:     hidden_global_offset_x
      - .offset:         80
        .size:           8
        .value_kind:     hidden_global_offset_y
      - .offset:         88
        .size:           8
        .value_kind:     hidden_global_offset_z
      - .offset:         96
        .size:           2
        .value_kind:     hidden_grid_dims
    .group_segment_fixed_size: 240
    .kernarg_segment_align: 8
    .kernarg_segment_size: 288
    .language:       OpenCL C
    .language_version:
      - 2
      - 0
    .max_flat_workgroup_size: 256
    .name:           _Z6kernelI14inclusive_scanN6common11custom_typeIddLb0EEELj15ELj100EEvPKT0_PS4_S4_
    .private_segment_fixed_size: 0
    .sgpr_count:     18
    .sgpr_spill_count: 0
    .symbol:         _Z6kernelI14inclusive_scanN6common11custom_typeIddLb0EEELj15ELj100EEvPKT0_PS4_S4_.kd
    .uniform_work_group_size: 1
    .uses_dynamic_stack: false
    .vgpr_count:     15
    .vgpr_spill_count: 0
    .wavefront_size: 32
    .workgroup_processor_mode: 1
  - .args:
      - .address_space:  global
        .offset:         0
        .size:           8
        .value_kind:     global_buffer
      - .address_space:  global
        .offset:         8
        .size:           8
        .value_kind:     global_buffer
      - .offset:         16
        .size:           16
        .value_kind:     by_value
      - .offset:         32
        .size:           4
        .value_kind:     hidden_block_count_x
      - .offset:         36
        .size:           4
        .value_kind:     hidden_block_count_y
      - .offset:         40
        .size:           4
        .value_kind:     hidden_block_count_z
      - .offset:         44
        .size:           2
        .value_kind:     hidden_group_size_x
      - .offset:         46
        .size:           2
        .value_kind:     hidden_group_size_y
      - .offset:         48
        .size:           2
        .value_kind:     hidden_group_size_z
      - .offset:         50
        .size:           2
        .value_kind:     hidden_remainder_x
      - .offset:         52
        .size:           2
        .value_kind:     hidden_remainder_y
      - .offset:         54
        .size:           2
        .value_kind:     hidden_remainder_z
      - .offset:         72
        .size:           8
        .value_kind:     hidden_global_offset_x
      - .offset:         80
        .size:           8
        .value_kind:     hidden_global_offset_y
      - .offset:         88
        .size:           8
        .value_kind:     hidden_global_offset_z
      - .offset:         96
        .size:           2
        .value_kind:     hidden_grid_dims
    .group_segment_fixed_size: 0
    .kernarg_segment_align: 8
    .kernarg_segment_size: 288
    .language:       OpenCL C
    .language_version:
      - 2
      - 0
    .max_flat_workgroup_size: 256
    .name:           _Z6kernelI14inclusive_scanN6common11custom_typeIidLb0EEELj64ELj100EEvPKT0_PS4_S4_
    .private_segment_fixed_size: 0
    .sgpr_count:     18
    .sgpr_spill_count: 0
    .symbol:         _Z6kernelI14inclusive_scanN6common11custom_typeIidLb0EEELj64ELj100EEvPKT0_PS4_S4_.kd
    .uniform_work_group_size: 1
    .uses_dynamic_stack: false
    .vgpr_count:     5
    .vgpr_spill_count: 0
    .wavefront_size: 32
    .workgroup_processor_mode: 1
  - .args:
      - .address_space:  global
        .offset:         0
        .size:           8
        .value_kind:     global_buffer
      - .address_space:  global
        .offset:         8
        .size:           8
        .value_kind:     global_buffer
      - .offset:         16
        .size:           16
        .value_kind:     by_value
      - .offset:         32
        .size:           4
        .value_kind:     hidden_block_count_x
      - .offset:         36
        .size:           4
        .value_kind:     hidden_block_count_y
      - .offset:         40
        .size:           4
        .value_kind:     hidden_block_count_z
      - .offset:         44
        .size:           2
        .value_kind:     hidden_group_size_x
      - .offset:         46
        .size:           2
        .value_kind:     hidden_group_size_y
      - .offset:         48
        .size:           2
        .value_kind:     hidden_group_size_z
      - .offset:         50
        .size:           2
        .value_kind:     hidden_remainder_x
      - .offset:         52
        .size:           2
        .value_kind:     hidden_remainder_y
      - .offset:         54
        .size:           2
        .value_kind:     hidden_remainder_z
      - .offset:         72
        .size:           8
        .value_kind:     hidden_global_offset_x
      - .offset:         80
        .size:           8
        .value_kind:     hidden_global_offset_y
      - .offset:         88
        .size:           8
        .value_kind:     hidden_global_offset_z
      - .offset:         96
        .size:           2
        .value_kind:     hidden_grid_dims
    .group_segment_fixed_size: 0
    .kernarg_segment_align: 8
    .kernarg_segment_size: 288
    .language:       OpenCL C
    .language_version:
      - 2
      - 0
    .max_flat_workgroup_size: 256
    .name:           _Z6kernelI14inclusive_scanN6common11custom_typeIidLb0EEELj32ELj100EEvPKT0_PS4_S4_
    .private_segment_fixed_size: 0
    .sgpr_count:     18
    .sgpr_spill_count: 0
    .symbol:         _Z6kernelI14inclusive_scanN6common11custom_typeIidLb0EEELj32ELj100EEvPKT0_PS4_S4_.kd
    .uniform_work_group_size: 1
    .uses_dynamic_stack: false
    .vgpr_count:     8
    .vgpr_spill_count: 0
    .wavefront_size: 32
    .workgroup_processor_mode: 1
  - .args:
      - .address_space:  global
        .offset:         0
        .size:           8
        .value_kind:     global_buffer
      - .address_space:  global
        .offset:         8
        .size:           8
        .value_kind:     global_buffer
      - .offset:         16
        .size:           16
        .value_kind:     by_value
      - .offset:         32
        .size:           4
        .value_kind:     hidden_block_count_x
      - .offset:         36
        .size:           4
        .value_kind:     hidden_block_count_y
      - .offset:         40
        .size:           4
        .value_kind:     hidden_block_count_z
      - .offset:         44
        .size:           2
        .value_kind:     hidden_group_size_x
      - .offset:         46
        .size:           2
        .value_kind:     hidden_group_size_y
      - .offset:         48
        .size:           2
        .value_kind:     hidden_group_size_z
      - .offset:         50
        .size:           2
        .value_kind:     hidden_remainder_x
      - .offset:         52
        .size:           2
        .value_kind:     hidden_remainder_y
      - .offset:         54
        .size:           2
        .value_kind:     hidden_remainder_z
      - .offset:         72
        .size:           8
        .value_kind:     hidden_global_offset_x
      - .offset:         80
        .size:           8
        .value_kind:     hidden_global_offset_y
      - .offset:         88
        .size:           8
        .value_kind:     hidden_global_offset_z
      - .offset:         96
        .size:           2
        .value_kind:     hidden_grid_dims
    .group_segment_fixed_size: 0
    .kernarg_segment_align: 8
    .kernarg_segment_size: 288
    .language:       OpenCL C
    .language_version:
      - 2
      - 0
    .max_flat_workgroup_size: 256
    .name:           _Z6kernelI14inclusive_scanN6common11custom_typeIidLb0EEELj16ELj100EEvPKT0_PS4_S4_
    .private_segment_fixed_size: 0
    .sgpr_count:     18
    .sgpr_spill_count: 0
    .symbol:         _Z6kernelI14inclusive_scanN6common11custom_typeIidLb0EEELj16ELj100EEvPKT0_PS4_S4_.kd
    .uniform_work_group_size: 1
    .uses_dynamic_stack: false
    .vgpr_count:     8
    .vgpr_spill_count: 0
    .wavefront_size: 32
    .workgroup_processor_mode: 1
  - .args:
      - .address_space:  global
        .offset:         0
        .size:           8
        .value_kind:     global_buffer
      - .address_space:  global
        .offset:         8
        .size:           8
        .value_kind:     global_buffer
      - .offset:         16
        .size:           16
        .value_kind:     by_value
      - .offset:         32
        .size:           4
        .value_kind:     hidden_block_count_x
      - .offset:         36
        .size:           4
        .value_kind:     hidden_block_count_y
      - .offset:         40
        .size:           4
        .value_kind:     hidden_block_count_z
      - .offset:         44
        .size:           2
        .value_kind:     hidden_group_size_x
      - .offset:         46
        .size:           2
        .value_kind:     hidden_group_size_y
      - .offset:         48
        .size:           2
        .value_kind:     hidden_group_size_z
      - .offset:         50
        .size:           2
        .value_kind:     hidden_remainder_x
      - .offset:         52
        .size:           2
        .value_kind:     hidden_remainder_y
      - .offset:         54
        .size:           2
        .value_kind:     hidden_remainder_z
      - .offset:         72
        .size:           8
        .value_kind:     hidden_global_offset_x
      - .offset:         80
        .size:           8
        .value_kind:     hidden_global_offset_y
      - .offset:         88
        .size:           8
        .value_kind:     hidden_global_offset_z
      - .offset:         96
        .size:           2
        .value_kind:     hidden_grid_dims
    .group_segment_fixed_size: 0
    .kernarg_segment_align: 8
    .kernarg_segment_size: 288
    .language:       OpenCL C
    .language_version:
      - 2
      - 0
    .max_flat_workgroup_size: 256
    .name:           _Z6kernelI14inclusive_scanN6common11custom_typeIidLb0EEELj63ELj100EEvPKT0_PS4_S4_
    .private_segment_fixed_size: 0
    .sgpr_count:     18
    .sgpr_spill_count: 0
    .symbol:         _Z6kernelI14inclusive_scanN6common11custom_typeIidLb0EEELj63ELj100EEvPKT0_PS4_S4_.kd
    .uniform_work_group_size: 1
    .uses_dynamic_stack: false
    .vgpr_count:     5
    .vgpr_spill_count: 0
    .wavefront_size: 32
    .workgroup_processor_mode: 1
  - .args:
      - .address_space:  global
        .offset:         0
        .size:           8
        .value_kind:     global_buffer
      - .address_space:  global
        .offset:         8
        .size:           8
        .value_kind:     global_buffer
      - .offset:         16
        .size:           16
        .value_kind:     by_value
      - .offset:         32
        .size:           4
        .value_kind:     hidden_block_count_x
      - .offset:         36
        .size:           4
        .value_kind:     hidden_block_count_y
      - .offset:         40
        .size:           4
        .value_kind:     hidden_block_count_z
      - .offset:         44
        .size:           2
        .value_kind:     hidden_group_size_x
      - .offset:         46
        .size:           2
        .value_kind:     hidden_group_size_y
      - .offset:         48
        .size:           2
        .value_kind:     hidden_group_size_z
      - .offset:         50
        .size:           2
        .value_kind:     hidden_remainder_x
      - .offset:         52
        .size:           2
        .value_kind:     hidden_remainder_y
      - .offset:         54
        .size:           2
        .value_kind:     hidden_remainder_z
      - .offset:         72
        .size:           8
        .value_kind:     hidden_global_offset_x
      - .offset:         80
        .size:           8
        .value_kind:     hidden_global_offset_y
      - .offset:         88
        .size:           8
        .value_kind:     hidden_global_offset_z
      - .offset:         96
        .size:           2
        .value_kind:     hidden_grid_dims
    .group_segment_fixed_size: 496
    .kernarg_segment_align: 8
    .kernarg_segment_size: 288
    .language:       OpenCL C
    .language_version:
      - 2
      - 0
    .max_flat_workgroup_size: 256
    .name:           _Z6kernelI14inclusive_scanN6common11custom_typeIidLb0EEELj31ELj100EEvPKT0_PS4_S4_
    .private_segment_fixed_size: 0
    .sgpr_count:     18
    .sgpr_spill_count: 0
    .symbol:         _Z6kernelI14inclusive_scanN6common11custom_typeIidLb0EEELj31ELj100EEvPKT0_PS4_S4_.kd
    .uniform_work_group_size: 1
    .uses_dynamic_stack: false
    .vgpr_count:     13
    .vgpr_spill_count: 0
    .wavefront_size: 32
    .workgroup_processor_mode: 1
  - .args:
      - .address_space:  global
        .offset:         0
        .size:           8
        .value_kind:     global_buffer
      - .address_space:  global
        .offset:         8
        .size:           8
        .value_kind:     global_buffer
      - .offset:         16
        .size:           16
        .value_kind:     by_value
      - .offset:         32
        .size:           4
        .value_kind:     hidden_block_count_x
      - .offset:         36
        .size:           4
        .value_kind:     hidden_block_count_y
      - .offset:         40
        .size:           4
        .value_kind:     hidden_block_count_z
      - .offset:         44
        .size:           2
        .value_kind:     hidden_group_size_x
      - .offset:         46
        .size:           2
        .value_kind:     hidden_group_size_y
      - .offset:         48
        .size:           2
        .value_kind:     hidden_group_size_z
      - .offset:         50
        .size:           2
        .value_kind:     hidden_remainder_x
      - .offset:         52
        .size:           2
        .value_kind:     hidden_remainder_y
      - .offset:         54
        .size:           2
        .value_kind:     hidden_remainder_z
      - .offset:         72
        .size:           8
        .value_kind:     hidden_global_offset_x
      - .offset:         80
        .size:           8
        .value_kind:     hidden_global_offset_y
      - .offset:         88
        .size:           8
        .value_kind:     hidden_global_offset_z
      - .offset:         96
        .size:           2
        .value_kind:     hidden_grid_dims
    .group_segment_fixed_size: 240
    .kernarg_segment_align: 8
    .kernarg_segment_size: 288
    .language:       OpenCL C
    .language_version:
      - 2
      - 0
    .max_flat_workgroup_size: 256
    .name:           _Z6kernelI14inclusive_scanN6common11custom_typeIidLb0EEELj15ELj100EEvPKT0_PS4_S4_
    .private_segment_fixed_size: 0
    .sgpr_count:     18
    .sgpr_spill_count: 0
    .symbol:         _Z6kernelI14inclusive_scanN6common11custom_typeIidLb0EEELj15ELj100EEvPKT0_PS4_S4_.kd
    .uniform_work_group_size: 1
    .uses_dynamic_stack: false
    .vgpr_count:     12
    .vgpr_spill_count: 0
    .wavefront_size: 32
    .workgroup_processor_mode: 1
  - .args:
      - .address_space:  global
        .offset:         0
        .size:           8
        .value_kind:     global_buffer
      - .address_space:  global
        .offset:         8
        .size:           8
        .value_kind:     global_buffer
      - .offset:         16
        .size:           16
        .value_kind:     by_value
      - .offset:         32
        .size:           4
        .value_kind:     hidden_block_count_x
      - .offset:         36
        .size:           4
        .value_kind:     hidden_block_count_y
      - .offset:         40
        .size:           4
        .value_kind:     hidden_block_count_z
      - .offset:         44
        .size:           2
        .value_kind:     hidden_group_size_x
      - .offset:         46
        .size:           2
        .value_kind:     hidden_group_size_y
      - .offset:         48
        .size:           2
        .value_kind:     hidden_group_size_z
      - .offset:         50
        .size:           2
        .value_kind:     hidden_remainder_x
      - .offset:         52
        .size:           2
        .value_kind:     hidden_remainder_y
      - .offset:         54
        .size:           2
        .value_kind:     hidden_remainder_z
      - .offset:         72
        .size:           8
        .value_kind:     hidden_global_offset_x
      - .offset:         80
        .size:           8
        .value_kind:     hidden_global_offset_y
      - .offset:         88
        .size:           8
        .value_kind:     hidden_global_offset_z
      - .offset:         96
        .size:           2
        .value_kind:     hidden_grid_dims
    .group_segment_fixed_size: 0
    .kernarg_segment_align: 8
    .kernarg_segment_size: 288
    .language:       OpenCL C
    .language_version:
      - 2
      - 0
    .max_flat_workgroup_size: 256
    .name:           _Z6kernelI14inclusive_scannLj64ELj100EEvPKT0_PS1_S1_
    .private_segment_fixed_size: 0
    .sgpr_count:     18
    .sgpr_spill_count: 0
    .symbol:         _Z6kernelI14inclusive_scannLj64ELj100EEvPKT0_PS1_S1_.kd
    .uniform_work_group_size: 1
    .uses_dynamic_stack: false
    .vgpr_count:     6
    .vgpr_spill_count: 0
    .wavefront_size: 32
    .workgroup_processor_mode: 1
  - .args:
      - .address_space:  global
        .offset:         0
        .size:           8
        .value_kind:     global_buffer
      - .address_space:  global
        .offset:         8
        .size:           8
        .value_kind:     global_buffer
      - .offset:         16
        .size:           16
        .value_kind:     by_value
      - .offset:         32
        .size:           4
        .value_kind:     hidden_block_count_x
      - .offset:         36
        .size:           4
        .value_kind:     hidden_block_count_y
      - .offset:         40
        .size:           4
        .value_kind:     hidden_block_count_z
      - .offset:         44
        .size:           2
        .value_kind:     hidden_group_size_x
      - .offset:         46
        .size:           2
        .value_kind:     hidden_group_size_y
      - .offset:         48
        .size:           2
        .value_kind:     hidden_group_size_z
      - .offset:         50
        .size:           2
        .value_kind:     hidden_remainder_x
      - .offset:         52
        .size:           2
        .value_kind:     hidden_remainder_y
      - .offset:         54
        .size:           2
        .value_kind:     hidden_remainder_z
      - .offset:         72
        .size:           8
        .value_kind:     hidden_global_offset_x
      - .offset:         80
        .size:           8
        .value_kind:     hidden_global_offset_y
      - .offset:         88
        .size:           8
        .value_kind:     hidden_global_offset_z
      - .offset:         96
        .size:           2
        .value_kind:     hidden_grid_dims
    .group_segment_fixed_size: 0
    .kernarg_segment_align: 8
    .kernarg_segment_size: 288
    .language:       OpenCL C
    .language_version:
      - 2
      - 0
    .max_flat_workgroup_size: 256
    .name:           _Z6kernelI14inclusive_scannLj32ELj100EEvPKT0_PS1_S1_
    .private_segment_fixed_size: 0
    .sgpr_count:     18
    .sgpr_spill_count: 0
    .symbol:         _Z6kernelI14inclusive_scannLj32ELj100EEvPKT0_PS1_S1_.kd
    .uniform_work_group_size: 1
    .uses_dynamic_stack: false
    .vgpr_count:     12
    .vgpr_spill_count: 0
    .wavefront_size: 32
    .workgroup_processor_mode: 1
  - .args:
      - .address_space:  global
        .offset:         0
        .size:           8
        .value_kind:     global_buffer
      - .address_space:  global
        .offset:         8
        .size:           8
        .value_kind:     global_buffer
      - .offset:         16
        .size:           16
        .value_kind:     by_value
      - .offset:         32
        .size:           4
        .value_kind:     hidden_block_count_x
      - .offset:         36
        .size:           4
        .value_kind:     hidden_block_count_y
      - .offset:         40
        .size:           4
        .value_kind:     hidden_block_count_z
      - .offset:         44
        .size:           2
        .value_kind:     hidden_group_size_x
      - .offset:         46
        .size:           2
        .value_kind:     hidden_group_size_y
      - .offset:         48
        .size:           2
        .value_kind:     hidden_group_size_z
      - .offset:         50
        .size:           2
        .value_kind:     hidden_remainder_x
      - .offset:         52
        .size:           2
        .value_kind:     hidden_remainder_y
      - .offset:         54
        .size:           2
        .value_kind:     hidden_remainder_z
      - .offset:         72
        .size:           8
        .value_kind:     hidden_global_offset_x
      - .offset:         80
        .size:           8
        .value_kind:     hidden_global_offset_y
      - .offset:         88
        .size:           8
        .value_kind:     hidden_global_offset_z
      - .offset:         96
        .size:           2
        .value_kind:     hidden_grid_dims
    .group_segment_fixed_size: 0
    .kernarg_segment_align: 8
    .kernarg_segment_size: 288
    .language:       OpenCL C
    .language_version:
      - 2
      - 0
    .max_flat_workgroup_size: 256
    .name:           _Z6kernelI14inclusive_scannLj16ELj100EEvPKT0_PS1_S1_
    .private_segment_fixed_size: 0
    .sgpr_count:     18
    .sgpr_spill_count: 0
    .symbol:         _Z6kernelI14inclusive_scannLj16ELj100EEvPKT0_PS1_S1_.kd
    .uniform_work_group_size: 1
    .uses_dynamic_stack: false
    .vgpr_count:     12
    .vgpr_spill_count: 0
    .wavefront_size: 32
    .workgroup_processor_mode: 1
  - .args:
      - .address_space:  global
        .offset:         0
        .size:           8
        .value_kind:     global_buffer
      - .address_space:  global
        .offset:         8
        .size:           8
        .value_kind:     global_buffer
      - .offset:         16
        .size:           16
        .value_kind:     by_value
      - .offset:         32
        .size:           4
        .value_kind:     hidden_block_count_x
      - .offset:         36
        .size:           4
        .value_kind:     hidden_block_count_y
      - .offset:         40
        .size:           4
        .value_kind:     hidden_block_count_z
      - .offset:         44
        .size:           2
        .value_kind:     hidden_group_size_x
      - .offset:         46
        .size:           2
        .value_kind:     hidden_group_size_y
      - .offset:         48
        .size:           2
        .value_kind:     hidden_group_size_z
      - .offset:         50
        .size:           2
        .value_kind:     hidden_remainder_x
      - .offset:         52
        .size:           2
        .value_kind:     hidden_remainder_y
      - .offset:         54
        .size:           2
        .value_kind:     hidden_remainder_z
      - .offset:         72
        .size:           8
        .value_kind:     hidden_global_offset_x
      - .offset:         80
        .size:           8
        .value_kind:     hidden_global_offset_y
      - .offset:         88
        .size:           8
        .value_kind:     hidden_global_offset_z
      - .offset:         96
        .size:           2
        .value_kind:     hidden_grid_dims
    .group_segment_fixed_size: 0
    .kernarg_segment_align: 8
    .kernarg_segment_size: 288
    .language:       OpenCL C
    .language_version:
      - 2
      - 0
    .max_flat_workgroup_size: 256
    .name:           _Z6kernelI14inclusive_scannLj63ELj100EEvPKT0_PS1_S1_
    .private_segment_fixed_size: 0
    .sgpr_count:     18
    .sgpr_spill_count: 0
    .symbol:         _Z6kernelI14inclusive_scannLj63ELj100EEvPKT0_PS1_S1_.kd
    .uniform_work_group_size: 1
    .uses_dynamic_stack: false
    .vgpr_count:     6
    .vgpr_spill_count: 0
    .wavefront_size: 32
    .workgroup_processor_mode: 1
  - .args:
      - .address_space:  global
        .offset:         0
        .size:           8
        .value_kind:     global_buffer
      - .address_space:  global
        .offset:         8
        .size:           8
        .value_kind:     global_buffer
      - .offset:         16
        .size:           16
        .value_kind:     by_value
      - .offset:         32
        .size:           4
        .value_kind:     hidden_block_count_x
      - .offset:         36
        .size:           4
        .value_kind:     hidden_block_count_y
      - .offset:         40
        .size:           4
        .value_kind:     hidden_block_count_z
      - .offset:         44
        .size:           2
        .value_kind:     hidden_group_size_x
      - .offset:         46
        .size:           2
        .value_kind:     hidden_group_size_y
      - .offset:         48
        .size:           2
        .value_kind:     hidden_group_size_z
      - .offset:         50
        .size:           2
        .value_kind:     hidden_remainder_x
      - .offset:         52
        .size:           2
        .value_kind:     hidden_remainder_y
      - .offset:         54
        .size:           2
        .value_kind:     hidden_remainder_z
      - .offset:         72
        .size:           8
        .value_kind:     hidden_global_offset_x
      - .offset:         80
        .size:           8
        .value_kind:     hidden_global_offset_y
      - .offset:         88
        .size:           8
        .value_kind:     hidden_global_offset_z
      - .offset:         96
        .size:           2
        .value_kind:     hidden_grid_dims
    .group_segment_fixed_size: 496
    .kernarg_segment_align: 8
    .kernarg_segment_size: 288
    .language:       OpenCL C
    .language_version:
      - 2
      - 0
    .max_flat_workgroup_size: 256
    .name:           _Z6kernelI14inclusive_scannLj31ELj100EEvPKT0_PS1_S1_
    .private_segment_fixed_size: 0
    .sgpr_count:     18
    .sgpr_spill_count: 0
    .symbol:         _Z6kernelI14inclusive_scannLj31ELj100EEvPKT0_PS1_S1_.kd
    .uniform_work_group_size: 1
    .uses_dynamic_stack: false
    .vgpr_count:     16
    .vgpr_spill_count: 0
    .wavefront_size: 32
    .workgroup_processor_mode: 1
  - .args:
      - .address_space:  global
        .offset:         0
        .size:           8
        .value_kind:     global_buffer
      - .address_space:  global
        .offset:         8
        .size:           8
        .value_kind:     global_buffer
      - .offset:         16
        .size:           16
        .value_kind:     by_value
      - .offset:         32
        .size:           4
        .value_kind:     hidden_block_count_x
      - .offset:         36
        .size:           4
        .value_kind:     hidden_block_count_y
      - .offset:         40
        .size:           4
        .value_kind:     hidden_block_count_z
      - .offset:         44
        .size:           2
        .value_kind:     hidden_group_size_x
      - .offset:         46
        .size:           2
        .value_kind:     hidden_group_size_y
      - .offset:         48
        .size:           2
        .value_kind:     hidden_group_size_z
      - .offset:         50
        .size:           2
        .value_kind:     hidden_remainder_x
      - .offset:         52
        .size:           2
        .value_kind:     hidden_remainder_y
      - .offset:         54
        .size:           2
        .value_kind:     hidden_remainder_z
      - .offset:         72
        .size:           8
        .value_kind:     hidden_global_offset_x
      - .offset:         80
        .size:           8
        .value_kind:     hidden_global_offset_y
      - .offset:         88
        .size:           8
        .value_kind:     hidden_global_offset_z
      - .offset:         96
        .size:           2
        .value_kind:     hidden_grid_dims
    .group_segment_fixed_size: 240
    .kernarg_segment_align: 8
    .kernarg_segment_size: 288
    .language:       OpenCL C
    .language_version:
      - 2
      - 0
    .max_flat_workgroup_size: 256
    .name:           _Z6kernelI14inclusive_scannLj15ELj100EEvPKT0_PS1_S1_
    .private_segment_fixed_size: 0
    .sgpr_count:     18
    .sgpr_spill_count: 0
    .symbol:         _Z6kernelI14inclusive_scannLj15ELj100EEvPKT0_PS1_S1_.kd
    .uniform_work_group_size: 1
    .uses_dynamic_stack: false
    .vgpr_count:     15
    .vgpr_spill_count: 0
    .wavefront_size: 32
    .workgroup_processor_mode: 1
  - .args:
      - .address_space:  global
        .offset:         0
        .size:           8
        .value_kind:     global_buffer
      - .address_space:  global
        .offset:         8
        .size:           8
        .value_kind:     global_buffer
      - .offset:         16
        .size:           16
        .value_kind:     by_value
      - .offset:         32
        .size:           4
        .value_kind:     hidden_block_count_x
      - .offset:         36
        .size:           4
        .value_kind:     hidden_block_count_y
      - .offset:         40
        .size:           4
        .value_kind:     hidden_block_count_z
      - .offset:         44
        .size:           2
        .value_kind:     hidden_group_size_x
      - .offset:         46
        .size:           2
        .value_kind:     hidden_group_size_y
      - .offset:         48
        .size:           2
        .value_kind:     hidden_group_size_z
      - .offset:         50
        .size:           2
        .value_kind:     hidden_remainder_x
      - .offset:         52
        .size:           2
        .value_kind:     hidden_remainder_y
      - .offset:         54
        .size:           2
        .value_kind:     hidden_remainder_z
      - .offset:         72
        .size:           8
        .value_kind:     hidden_global_offset_x
      - .offset:         80
        .size:           8
        .value_kind:     hidden_global_offset_y
      - .offset:         88
        .size:           8
        .value_kind:     hidden_global_offset_z
      - .offset:         96
        .size:           2
        .value_kind:     hidden_grid_dims
    .group_segment_fixed_size: 0
    .kernarg_segment_align: 8
    .kernarg_segment_size: 288
    .language:       OpenCL C
    .language_version:
      - 2
      - 0
    .max_flat_workgroup_size: 256
    .name:           _Z6kernelI14inclusive_scanoLj64ELj100EEvPKT0_PS1_S1_
    .private_segment_fixed_size: 0
    .sgpr_count:     18
    .sgpr_spill_count: 0
    .symbol:         _Z6kernelI14inclusive_scanoLj64ELj100EEvPKT0_PS1_S1_.kd
    .uniform_work_group_size: 1
    .uses_dynamic_stack: false
    .vgpr_count:     6
    .vgpr_spill_count: 0
    .wavefront_size: 32
    .workgroup_processor_mode: 1
  - .args:
      - .address_space:  global
        .offset:         0
        .size:           8
        .value_kind:     global_buffer
      - .address_space:  global
        .offset:         8
        .size:           8
        .value_kind:     global_buffer
      - .offset:         16
        .size:           16
        .value_kind:     by_value
      - .offset:         32
        .size:           4
        .value_kind:     hidden_block_count_x
      - .offset:         36
        .size:           4
        .value_kind:     hidden_block_count_y
      - .offset:         40
        .size:           4
        .value_kind:     hidden_block_count_z
      - .offset:         44
        .size:           2
        .value_kind:     hidden_group_size_x
      - .offset:         46
        .size:           2
        .value_kind:     hidden_group_size_y
      - .offset:         48
        .size:           2
        .value_kind:     hidden_group_size_z
      - .offset:         50
        .size:           2
        .value_kind:     hidden_remainder_x
      - .offset:         52
        .size:           2
        .value_kind:     hidden_remainder_y
      - .offset:         54
        .size:           2
        .value_kind:     hidden_remainder_z
      - .offset:         72
        .size:           8
        .value_kind:     hidden_global_offset_x
      - .offset:         80
        .size:           8
        .value_kind:     hidden_global_offset_y
      - .offset:         88
        .size:           8
        .value_kind:     hidden_global_offset_z
      - .offset:         96
        .size:           2
        .value_kind:     hidden_grid_dims
    .group_segment_fixed_size: 0
    .kernarg_segment_align: 8
    .kernarg_segment_size: 288
    .language:       OpenCL C
    .language_version:
      - 2
      - 0
    .max_flat_workgroup_size: 256
    .name:           _Z6kernelI14inclusive_scanoLj32ELj100EEvPKT0_PS1_S1_
    .private_segment_fixed_size: 0
    .sgpr_count:     18
    .sgpr_spill_count: 0
    .symbol:         _Z6kernelI14inclusive_scanoLj32ELj100EEvPKT0_PS1_S1_.kd
    .uniform_work_group_size: 1
    .uses_dynamic_stack: false
    .vgpr_count:     12
    .vgpr_spill_count: 0
    .wavefront_size: 32
    .workgroup_processor_mode: 1
  - .args:
      - .address_space:  global
        .offset:         0
        .size:           8
        .value_kind:     global_buffer
      - .address_space:  global
        .offset:         8
        .size:           8
        .value_kind:     global_buffer
      - .offset:         16
        .size:           16
        .value_kind:     by_value
      - .offset:         32
        .size:           4
        .value_kind:     hidden_block_count_x
      - .offset:         36
        .size:           4
        .value_kind:     hidden_block_count_y
      - .offset:         40
        .size:           4
        .value_kind:     hidden_block_count_z
      - .offset:         44
        .size:           2
        .value_kind:     hidden_group_size_x
      - .offset:         46
        .size:           2
        .value_kind:     hidden_group_size_y
      - .offset:         48
        .size:           2
        .value_kind:     hidden_group_size_z
      - .offset:         50
        .size:           2
        .value_kind:     hidden_remainder_x
      - .offset:         52
        .size:           2
        .value_kind:     hidden_remainder_y
      - .offset:         54
        .size:           2
        .value_kind:     hidden_remainder_z
      - .offset:         72
        .size:           8
        .value_kind:     hidden_global_offset_x
      - .offset:         80
        .size:           8
        .value_kind:     hidden_global_offset_y
      - .offset:         88
        .size:           8
        .value_kind:     hidden_global_offset_z
      - .offset:         96
        .size:           2
        .value_kind:     hidden_grid_dims
    .group_segment_fixed_size: 0
    .kernarg_segment_align: 8
    .kernarg_segment_size: 288
    .language:       OpenCL C
    .language_version:
      - 2
      - 0
    .max_flat_workgroup_size: 256
    .name:           _Z6kernelI14inclusive_scanoLj16ELj100EEvPKT0_PS1_S1_
    .private_segment_fixed_size: 0
    .sgpr_count:     18
    .sgpr_spill_count: 0
    .symbol:         _Z6kernelI14inclusive_scanoLj16ELj100EEvPKT0_PS1_S1_.kd
    .uniform_work_group_size: 1
    .uses_dynamic_stack: false
    .vgpr_count:     12
    .vgpr_spill_count: 0
    .wavefront_size: 32
    .workgroup_processor_mode: 1
  - .args:
      - .address_space:  global
        .offset:         0
        .size:           8
        .value_kind:     global_buffer
      - .address_space:  global
        .offset:         8
        .size:           8
        .value_kind:     global_buffer
      - .offset:         16
        .size:           16
        .value_kind:     by_value
      - .offset:         32
        .size:           4
        .value_kind:     hidden_block_count_x
      - .offset:         36
        .size:           4
        .value_kind:     hidden_block_count_y
      - .offset:         40
        .size:           4
        .value_kind:     hidden_block_count_z
      - .offset:         44
        .size:           2
        .value_kind:     hidden_group_size_x
      - .offset:         46
        .size:           2
        .value_kind:     hidden_group_size_y
      - .offset:         48
        .size:           2
        .value_kind:     hidden_group_size_z
      - .offset:         50
        .size:           2
        .value_kind:     hidden_remainder_x
      - .offset:         52
        .size:           2
        .value_kind:     hidden_remainder_y
      - .offset:         54
        .size:           2
        .value_kind:     hidden_remainder_z
      - .offset:         72
        .size:           8
        .value_kind:     hidden_global_offset_x
      - .offset:         80
        .size:           8
        .value_kind:     hidden_global_offset_y
      - .offset:         88
        .size:           8
        .value_kind:     hidden_global_offset_z
      - .offset:         96
        .size:           2
        .value_kind:     hidden_grid_dims
    .group_segment_fixed_size: 0
    .kernarg_segment_align: 8
    .kernarg_segment_size: 288
    .language:       OpenCL C
    .language_version:
      - 2
      - 0
    .max_flat_workgroup_size: 256
    .name:           _Z6kernelI14inclusive_scanoLj63ELj100EEvPKT0_PS1_S1_
    .private_segment_fixed_size: 0
    .sgpr_count:     18
    .sgpr_spill_count: 0
    .symbol:         _Z6kernelI14inclusive_scanoLj63ELj100EEvPKT0_PS1_S1_.kd
    .uniform_work_group_size: 1
    .uses_dynamic_stack: false
    .vgpr_count:     6
    .vgpr_spill_count: 0
    .wavefront_size: 32
    .workgroup_processor_mode: 1
  - .args:
      - .address_space:  global
        .offset:         0
        .size:           8
        .value_kind:     global_buffer
      - .address_space:  global
        .offset:         8
        .size:           8
        .value_kind:     global_buffer
      - .offset:         16
        .size:           16
        .value_kind:     by_value
      - .offset:         32
        .size:           4
        .value_kind:     hidden_block_count_x
      - .offset:         36
        .size:           4
        .value_kind:     hidden_block_count_y
      - .offset:         40
        .size:           4
        .value_kind:     hidden_block_count_z
      - .offset:         44
        .size:           2
        .value_kind:     hidden_group_size_x
      - .offset:         46
        .size:           2
        .value_kind:     hidden_group_size_y
      - .offset:         48
        .size:           2
        .value_kind:     hidden_group_size_z
      - .offset:         50
        .size:           2
        .value_kind:     hidden_remainder_x
      - .offset:         52
        .size:           2
        .value_kind:     hidden_remainder_y
      - .offset:         54
        .size:           2
        .value_kind:     hidden_remainder_z
      - .offset:         72
        .size:           8
        .value_kind:     hidden_global_offset_x
      - .offset:         80
        .size:           8
        .value_kind:     hidden_global_offset_y
      - .offset:         88
        .size:           8
        .value_kind:     hidden_global_offset_z
      - .offset:         96
        .size:           2
        .value_kind:     hidden_grid_dims
    .group_segment_fixed_size: 496
    .kernarg_segment_align: 8
    .kernarg_segment_size: 288
    .language:       OpenCL C
    .language_version:
      - 2
      - 0
    .max_flat_workgroup_size: 256
    .name:           _Z6kernelI14inclusive_scanoLj31ELj100EEvPKT0_PS1_S1_
    .private_segment_fixed_size: 0
    .sgpr_count:     18
    .sgpr_spill_count: 0
    .symbol:         _Z6kernelI14inclusive_scanoLj31ELj100EEvPKT0_PS1_S1_.kd
    .uniform_work_group_size: 1
    .uses_dynamic_stack: false
    .vgpr_count:     16
    .vgpr_spill_count: 0
    .wavefront_size: 32
    .workgroup_processor_mode: 1
  - .args:
      - .address_space:  global
        .offset:         0
        .size:           8
        .value_kind:     global_buffer
      - .address_space:  global
        .offset:         8
        .size:           8
        .value_kind:     global_buffer
      - .offset:         16
        .size:           16
        .value_kind:     by_value
      - .offset:         32
        .size:           4
        .value_kind:     hidden_block_count_x
      - .offset:         36
        .size:           4
        .value_kind:     hidden_block_count_y
      - .offset:         40
        .size:           4
        .value_kind:     hidden_block_count_z
      - .offset:         44
        .size:           2
        .value_kind:     hidden_group_size_x
      - .offset:         46
        .size:           2
        .value_kind:     hidden_group_size_y
      - .offset:         48
        .size:           2
        .value_kind:     hidden_group_size_z
      - .offset:         50
        .size:           2
        .value_kind:     hidden_remainder_x
      - .offset:         52
        .size:           2
        .value_kind:     hidden_remainder_y
      - .offset:         54
        .size:           2
        .value_kind:     hidden_remainder_z
      - .offset:         72
        .size:           8
        .value_kind:     hidden_global_offset_x
      - .offset:         80
        .size:           8
        .value_kind:     hidden_global_offset_y
      - .offset:         88
        .size:           8
        .value_kind:     hidden_global_offset_z
      - .offset:         96
        .size:           2
        .value_kind:     hidden_grid_dims
    .group_segment_fixed_size: 240
    .kernarg_segment_align: 8
    .kernarg_segment_size: 288
    .language:       OpenCL C
    .language_version:
      - 2
      - 0
    .max_flat_workgroup_size: 256
    .name:           _Z6kernelI14inclusive_scanoLj15ELj100EEvPKT0_PS1_S1_
    .private_segment_fixed_size: 0
    .sgpr_count:     18
    .sgpr_spill_count: 0
    .symbol:         _Z6kernelI14inclusive_scanoLj15ELj100EEvPKT0_PS1_S1_.kd
    .uniform_work_group_size: 1
    .uses_dynamic_stack: false
    .vgpr_count:     15
    .vgpr_spill_count: 0
    .wavefront_size: 32
    .workgroup_processor_mode: 1
  - .args:
      - .address_space:  global
        .offset:         0
        .size:           8
        .value_kind:     global_buffer
      - .address_space:  global
        .offset:         8
        .size:           8
        .value_kind:     global_buffer
      - .offset:         16
        .size:           4
        .value_kind:     by_value
      - .offset:         24
        .size:           4
        .value_kind:     hidden_block_count_x
      - .offset:         28
        .size:           4
        .value_kind:     hidden_block_count_y
      - .offset:         32
        .size:           4
        .value_kind:     hidden_block_count_z
      - .offset:         36
        .size:           2
        .value_kind:     hidden_group_size_x
      - .offset:         38
        .size:           2
        .value_kind:     hidden_group_size_y
      - .offset:         40
        .size:           2
        .value_kind:     hidden_group_size_z
      - .offset:         42
        .size:           2
        .value_kind:     hidden_remainder_x
      - .offset:         44
        .size:           2
        .value_kind:     hidden_remainder_y
      - .offset:         46
        .size:           2
        .value_kind:     hidden_remainder_z
      - .offset:         64
        .size:           8
        .value_kind:     hidden_global_offset_x
      - .offset:         72
        .size:           8
        .value_kind:     hidden_global_offset_y
      - .offset:         80
        .size:           8
        .value_kind:     hidden_global_offset_z
      - .offset:         88
        .size:           2
        .value_kind:     hidden_grid_dims
    .group_segment_fixed_size: 0
    .kernarg_segment_align: 8
    .kernarg_segment_size: 280
    .language:       OpenCL C
    .language_version:
      - 2
      - 0
    .max_flat_workgroup_size: 256
    .name:           _Z6kernelI14exclusive_scaniLj64ELj100EEvPKT0_PS1_S1_
    .private_segment_fixed_size: 0
    .sgpr_count:     18
    .sgpr_spill_count: 0
    .symbol:         _Z6kernelI14exclusive_scaniLj64ELj100EEvPKT0_PS1_S1_.kd
    .uniform_work_group_size: 1
    .uses_dynamic_stack: false
    .vgpr_count:     4
    .vgpr_spill_count: 0
    .wavefront_size: 32
    .workgroup_processor_mode: 1
  - .args:
      - .address_space:  global
        .offset:         0
        .size:           8
        .value_kind:     global_buffer
      - .address_space:  global
        .offset:         8
        .size:           8
        .value_kind:     global_buffer
      - .offset:         16
        .size:           4
        .value_kind:     by_value
      - .offset:         24
        .size:           4
        .value_kind:     hidden_block_count_x
      - .offset:         28
        .size:           4
        .value_kind:     hidden_block_count_y
      - .offset:         32
        .size:           4
        .value_kind:     hidden_block_count_z
      - .offset:         36
        .size:           2
        .value_kind:     hidden_group_size_x
      - .offset:         38
        .size:           2
        .value_kind:     hidden_group_size_y
      - .offset:         40
        .size:           2
        .value_kind:     hidden_group_size_z
      - .offset:         42
        .size:           2
        .value_kind:     hidden_remainder_x
      - .offset:         44
        .size:           2
        .value_kind:     hidden_remainder_y
      - .offset:         46
        .size:           2
        .value_kind:     hidden_remainder_z
      - .offset:         64
        .size:           8
        .value_kind:     hidden_global_offset_x
      - .offset:         72
        .size:           8
        .value_kind:     hidden_global_offset_y
      - .offset:         80
        .size:           8
        .value_kind:     hidden_global_offset_z
      - .offset:         88
        .size:           2
        .value_kind:     hidden_grid_dims
    .group_segment_fixed_size: 0
    .kernarg_segment_align: 8
    .kernarg_segment_size: 280
    .language:       OpenCL C
    .language_version:
      - 2
      - 0
    .max_flat_workgroup_size: 256
    .name:           _Z6kernelI14exclusive_scaniLj32ELj100EEvPKT0_PS1_S1_
    .private_segment_fixed_size: 0
    .sgpr_count:     18
    .sgpr_spill_count: 0
    .symbol:         _Z6kernelI14exclusive_scaniLj32ELj100EEvPKT0_PS1_S1_.kd
    .uniform_work_group_size: 1
    .uses_dynamic_stack: false
    .vgpr_count:     7
    .vgpr_spill_count: 0
    .wavefront_size: 32
    .workgroup_processor_mode: 1
  - .args:
      - .address_space:  global
        .offset:         0
        .size:           8
        .value_kind:     global_buffer
      - .address_space:  global
        .offset:         8
        .size:           8
        .value_kind:     global_buffer
      - .offset:         16
        .size:           4
        .value_kind:     by_value
      - .offset:         24
        .size:           4
        .value_kind:     hidden_block_count_x
      - .offset:         28
        .size:           4
        .value_kind:     hidden_block_count_y
      - .offset:         32
        .size:           4
        .value_kind:     hidden_block_count_z
      - .offset:         36
        .size:           2
        .value_kind:     hidden_group_size_x
      - .offset:         38
        .size:           2
        .value_kind:     hidden_group_size_y
      - .offset:         40
        .size:           2
        .value_kind:     hidden_group_size_z
      - .offset:         42
        .size:           2
        .value_kind:     hidden_remainder_x
      - .offset:         44
        .size:           2
        .value_kind:     hidden_remainder_y
      - .offset:         46
        .size:           2
        .value_kind:     hidden_remainder_z
      - .offset:         64
        .size:           8
        .value_kind:     hidden_global_offset_x
      - .offset:         72
        .size:           8
        .value_kind:     hidden_global_offset_y
      - .offset:         80
        .size:           8
        .value_kind:     hidden_global_offset_z
      - .offset:         88
        .size:           2
        .value_kind:     hidden_grid_dims
    .group_segment_fixed_size: 0
    .kernarg_segment_align: 8
    .kernarg_segment_size: 280
    .language:       OpenCL C
    .language_version:
      - 2
      - 0
    .max_flat_workgroup_size: 256
    .name:           _Z6kernelI14exclusive_scaniLj16ELj100EEvPKT0_PS1_S1_
    .private_segment_fixed_size: 0
    .sgpr_count:     18
    .sgpr_spill_count: 0
    .symbol:         _Z6kernelI14exclusive_scaniLj16ELj100EEvPKT0_PS1_S1_.kd
    .uniform_work_group_size: 1
    .uses_dynamic_stack: false
    .vgpr_count:     7
    .vgpr_spill_count: 0
    .wavefront_size: 32
    .workgroup_processor_mode: 1
  - .args:
      - .address_space:  global
        .offset:         0
        .size:           8
        .value_kind:     global_buffer
      - .address_space:  global
        .offset:         8
        .size:           8
        .value_kind:     global_buffer
      - .offset:         16
        .size:           4
        .value_kind:     by_value
      - .offset:         24
        .size:           4
        .value_kind:     hidden_block_count_x
      - .offset:         28
        .size:           4
        .value_kind:     hidden_block_count_y
      - .offset:         32
        .size:           4
        .value_kind:     hidden_block_count_z
      - .offset:         36
        .size:           2
        .value_kind:     hidden_group_size_x
      - .offset:         38
        .size:           2
        .value_kind:     hidden_group_size_y
      - .offset:         40
        .size:           2
        .value_kind:     hidden_group_size_z
      - .offset:         42
        .size:           2
        .value_kind:     hidden_remainder_x
      - .offset:         44
        .size:           2
        .value_kind:     hidden_remainder_y
      - .offset:         46
        .size:           2
        .value_kind:     hidden_remainder_z
      - .offset:         64
        .size:           8
        .value_kind:     hidden_global_offset_x
      - .offset:         72
        .size:           8
        .value_kind:     hidden_global_offset_y
      - .offset:         80
        .size:           8
        .value_kind:     hidden_global_offset_z
      - .offset:         88
        .size:           2
        .value_kind:     hidden_grid_dims
    .group_segment_fixed_size: 0
    .kernarg_segment_align: 8
    .kernarg_segment_size: 280
    .language:       OpenCL C
    .language_version:
      - 2
      - 0
    .max_flat_workgroup_size: 256
    .name:           _Z6kernelI14exclusive_scaniLj63ELj100EEvPKT0_PS1_S1_
    .private_segment_fixed_size: 0
    .sgpr_count:     18
    .sgpr_spill_count: 0
    .symbol:         _Z6kernelI14exclusive_scaniLj63ELj100EEvPKT0_PS1_S1_.kd
    .uniform_work_group_size: 1
    .uses_dynamic_stack: false
    .vgpr_count:     4
    .vgpr_spill_count: 0
    .wavefront_size: 32
    .workgroup_processor_mode: 1
  - .args:
      - .address_space:  global
        .offset:         0
        .size:           8
        .value_kind:     global_buffer
      - .address_space:  global
        .offset:         8
        .size:           8
        .value_kind:     global_buffer
      - .offset:         16
        .size:           4
        .value_kind:     by_value
      - .offset:         24
        .size:           4
        .value_kind:     hidden_block_count_x
      - .offset:         28
        .size:           4
        .value_kind:     hidden_block_count_y
      - .offset:         32
        .size:           4
        .value_kind:     hidden_block_count_z
      - .offset:         36
        .size:           2
        .value_kind:     hidden_group_size_x
      - .offset:         38
        .size:           2
        .value_kind:     hidden_group_size_y
      - .offset:         40
        .size:           2
        .value_kind:     hidden_group_size_z
      - .offset:         42
        .size:           2
        .value_kind:     hidden_remainder_x
      - .offset:         44
        .size:           2
        .value_kind:     hidden_remainder_y
      - .offset:         46
        .size:           2
        .value_kind:     hidden_remainder_z
      - .offset:         64
        .size:           8
        .value_kind:     hidden_global_offset_x
      - .offset:         72
        .size:           8
        .value_kind:     hidden_global_offset_y
      - .offset:         80
        .size:           8
        .value_kind:     hidden_global_offset_z
      - .offset:         88
        .size:           2
        .value_kind:     hidden_grid_dims
    .group_segment_fixed_size: 124
    .kernarg_segment_align: 8
    .kernarg_segment_size: 280
    .language:       OpenCL C
    .language_version:
      - 2
      - 0
    .max_flat_workgroup_size: 256
    .name:           _Z6kernelI14exclusive_scaniLj31ELj100EEvPKT0_PS1_S1_
    .private_segment_fixed_size: 0
    .sgpr_count:     18
    .sgpr_spill_count: 0
    .symbol:         _Z6kernelI14exclusive_scaniLj31ELj100EEvPKT0_PS1_S1_.kd
    .uniform_work_group_size: 1
    .uses_dynamic_stack: false
    .vgpr_count:     10
    .vgpr_spill_count: 0
    .wavefront_size: 32
    .workgroup_processor_mode: 1
  - .args:
      - .address_space:  global
        .offset:         0
        .size:           8
        .value_kind:     global_buffer
      - .address_space:  global
        .offset:         8
        .size:           8
        .value_kind:     global_buffer
      - .offset:         16
        .size:           4
        .value_kind:     by_value
      - .offset:         24
        .size:           4
        .value_kind:     hidden_block_count_x
      - .offset:         28
        .size:           4
        .value_kind:     hidden_block_count_y
      - .offset:         32
        .size:           4
        .value_kind:     hidden_block_count_z
      - .offset:         36
        .size:           2
        .value_kind:     hidden_group_size_x
      - .offset:         38
        .size:           2
        .value_kind:     hidden_group_size_y
      - .offset:         40
        .size:           2
        .value_kind:     hidden_group_size_z
      - .offset:         42
        .size:           2
        .value_kind:     hidden_remainder_x
      - .offset:         44
        .size:           2
        .value_kind:     hidden_remainder_y
      - .offset:         46
        .size:           2
        .value_kind:     hidden_remainder_z
      - .offset:         64
        .size:           8
        .value_kind:     hidden_global_offset_x
      - .offset:         72
        .size:           8
        .value_kind:     hidden_global_offset_y
      - .offset:         80
        .size:           8
        .value_kind:     hidden_global_offset_z
      - .offset:         88
        .size:           2
        .value_kind:     hidden_grid_dims
    .group_segment_fixed_size: 60
    .kernarg_segment_align: 8
    .kernarg_segment_size: 280
    .language:       OpenCL C
    .language_version:
      - 2
      - 0
    .max_flat_workgroup_size: 256
    .name:           _Z6kernelI14exclusive_scaniLj15ELj100EEvPKT0_PS1_S1_
    .private_segment_fixed_size: 0
    .sgpr_count:     18
    .sgpr_spill_count: 0
    .symbol:         _Z6kernelI14exclusive_scaniLj15ELj100EEvPKT0_PS1_S1_.kd
    .uniform_work_group_size: 1
    .uses_dynamic_stack: false
    .vgpr_count:     9
    .vgpr_spill_count: 0
    .wavefront_size: 32
    .workgroup_processor_mode: 1
  - .args:
      - .address_space:  global
        .offset:         0
        .size:           8
        .value_kind:     global_buffer
      - .address_space:  global
        .offset:         8
        .size:           8
        .value_kind:     global_buffer
      - .offset:         16
        .size:           4
        .value_kind:     by_value
      - .offset:         24
        .size:           4
        .value_kind:     hidden_block_count_x
      - .offset:         28
        .size:           4
        .value_kind:     hidden_block_count_y
      - .offset:         32
        .size:           4
        .value_kind:     hidden_block_count_z
      - .offset:         36
        .size:           2
        .value_kind:     hidden_group_size_x
      - .offset:         38
        .size:           2
        .value_kind:     hidden_group_size_y
      - .offset:         40
        .size:           2
        .value_kind:     hidden_group_size_z
      - .offset:         42
        .size:           2
        .value_kind:     hidden_remainder_x
      - .offset:         44
        .size:           2
        .value_kind:     hidden_remainder_y
      - .offset:         46
        .size:           2
        .value_kind:     hidden_remainder_z
      - .offset:         64
        .size:           8
        .value_kind:     hidden_global_offset_x
      - .offset:         72
        .size:           8
        .value_kind:     hidden_global_offset_y
      - .offset:         80
        .size:           8
        .value_kind:     hidden_global_offset_z
      - .offset:         88
        .size:           2
        .value_kind:     hidden_grid_dims
    .group_segment_fixed_size: 0
    .kernarg_segment_align: 8
    .kernarg_segment_size: 280
    .language:       OpenCL C
    .language_version:
      - 2
      - 0
    .max_flat_workgroup_size: 256
    .name:           _Z6kernelI14exclusive_scanfLj64ELj100EEvPKT0_PS1_S1_
    .private_segment_fixed_size: 0
    .sgpr_count:     18
    .sgpr_spill_count: 0
    .symbol:         _Z6kernelI14exclusive_scanfLj64ELj100EEvPKT0_PS1_S1_.kd
    .uniform_work_group_size: 1
    .uses_dynamic_stack: false
    .vgpr_count:     4
    .vgpr_spill_count: 0
    .wavefront_size: 32
    .workgroup_processor_mode: 1
  - .args:
      - .address_space:  global
        .offset:         0
        .size:           8
        .value_kind:     global_buffer
      - .address_space:  global
        .offset:         8
        .size:           8
        .value_kind:     global_buffer
      - .offset:         16
        .size:           4
        .value_kind:     by_value
      - .offset:         24
        .size:           4
        .value_kind:     hidden_block_count_x
      - .offset:         28
        .size:           4
        .value_kind:     hidden_block_count_y
      - .offset:         32
        .size:           4
        .value_kind:     hidden_block_count_z
      - .offset:         36
        .size:           2
        .value_kind:     hidden_group_size_x
      - .offset:         38
        .size:           2
        .value_kind:     hidden_group_size_y
      - .offset:         40
        .size:           2
        .value_kind:     hidden_group_size_z
      - .offset:         42
        .size:           2
        .value_kind:     hidden_remainder_x
      - .offset:         44
        .size:           2
        .value_kind:     hidden_remainder_y
      - .offset:         46
        .size:           2
        .value_kind:     hidden_remainder_z
      - .offset:         64
        .size:           8
        .value_kind:     hidden_global_offset_x
      - .offset:         72
        .size:           8
        .value_kind:     hidden_global_offset_y
      - .offset:         80
        .size:           8
        .value_kind:     hidden_global_offset_z
      - .offset:         88
        .size:           2
        .value_kind:     hidden_grid_dims
    .group_segment_fixed_size: 0
    .kernarg_segment_align: 8
    .kernarg_segment_size: 280
    .language:       OpenCL C
    .language_version:
      - 2
      - 0
    .max_flat_workgroup_size: 256
    .name:           _Z6kernelI14exclusive_scanfLj32ELj100EEvPKT0_PS1_S1_
    .private_segment_fixed_size: 0
    .sgpr_count:     18
    .sgpr_spill_count: 0
    .symbol:         _Z6kernelI14exclusive_scanfLj32ELj100EEvPKT0_PS1_S1_.kd
    .uniform_work_group_size: 1
    .uses_dynamic_stack: false
    .vgpr_count:     7
    .vgpr_spill_count: 0
    .wavefront_size: 32
    .workgroup_processor_mode: 1
  - .args:
      - .address_space:  global
        .offset:         0
        .size:           8
        .value_kind:     global_buffer
      - .address_space:  global
        .offset:         8
        .size:           8
        .value_kind:     global_buffer
      - .offset:         16
        .size:           4
        .value_kind:     by_value
      - .offset:         24
        .size:           4
        .value_kind:     hidden_block_count_x
      - .offset:         28
        .size:           4
        .value_kind:     hidden_block_count_y
      - .offset:         32
        .size:           4
        .value_kind:     hidden_block_count_z
      - .offset:         36
        .size:           2
        .value_kind:     hidden_group_size_x
      - .offset:         38
        .size:           2
        .value_kind:     hidden_group_size_y
      - .offset:         40
        .size:           2
        .value_kind:     hidden_group_size_z
      - .offset:         42
        .size:           2
        .value_kind:     hidden_remainder_x
      - .offset:         44
        .size:           2
        .value_kind:     hidden_remainder_y
      - .offset:         46
        .size:           2
        .value_kind:     hidden_remainder_z
      - .offset:         64
        .size:           8
        .value_kind:     hidden_global_offset_x
      - .offset:         72
        .size:           8
        .value_kind:     hidden_global_offset_y
      - .offset:         80
        .size:           8
        .value_kind:     hidden_global_offset_z
      - .offset:         88
        .size:           2
        .value_kind:     hidden_grid_dims
    .group_segment_fixed_size: 0
    .kernarg_segment_align: 8
    .kernarg_segment_size: 280
    .language:       OpenCL C
    .language_version:
      - 2
      - 0
    .max_flat_workgroup_size: 256
    .name:           _Z6kernelI14exclusive_scanfLj16ELj100EEvPKT0_PS1_S1_
    .private_segment_fixed_size: 0
    .sgpr_count:     18
    .sgpr_spill_count: 0
    .symbol:         _Z6kernelI14exclusive_scanfLj16ELj100EEvPKT0_PS1_S1_.kd
    .uniform_work_group_size: 1
    .uses_dynamic_stack: false
    .vgpr_count:     7
    .vgpr_spill_count: 0
    .wavefront_size: 32
    .workgroup_processor_mode: 1
  - .args:
      - .address_space:  global
        .offset:         0
        .size:           8
        .value_kind:     global_buffer
      - .address_space:  global
        .offset:         8
        .size:           8
        .value_kind:     global_buffer
      - .offset:         16
        .size:           4
        .value_kind:     by_value
      - .offset:         24
        .size:           4
        .value_kind:     hidden_block_count_x
      - .offset:         28
        .size:           4
        .value_kind:     hidden_block_count_y
      - .offset:         32
        .size:           4
        .value_kind:     hidden_block_count_z
      - .offset:         36
        .size:           2
        .value_kind:     hidden_group_size_x
      - .offset:         38
        .size:           2
        .value_kind:     hidden_group_size_y
      - .offset:         40
        .size:           2
        .value_kind:     hidden_group_size_z
      - .offset:         42
        .size:           2
        .value_kind:     hidden_remainder_x
      - .offset:         44
        .size:           2
        .value_kind:     hidden_remainder_y
      - .offset:         46
        .size:           2
        .value_kind:     hidden_remainder_z
      - .offset:         64
        .size:           8
        .value_kind:     hidden_global_offset_x
      - .offset:         72
        .size:           8
        .value_kind:     hidden_global_offset_y
      - .offset:         80
        .size:           8
        .value_kind:     hidden_global_offset_z
      - .offset:         88
        .size:           2
        .value_kind:     hidden_grid_dims
    .group_segment_fixed_size: 0
    .kernarg_segment_align: 8
    .kernarg_segment_size: 280
    .language:       OpenCL C
    .language_version:
      - 2
      - 0
    .max_flat_workgroup_size: 256
    .name:           _Z6kernelI14exclusive_scanfLj63ELj100EEvPKT0_PS1_S1_
    .private_segment_fixed_size: 0
    .sgpr_count:     18
    .sgpr_spill_count: 0
    .symbol:         _Z6kernelI14exclusive_scanfLj63ELj100EEvPKT0_PS1_S1_.kd
    .uniform_work_group_size: 1
    .uses_dynamic_stack: false
    .vgpr_count:     4
    .vgpr_spill_count: 0
    .wavefront_size: 32
    .workgroup_processor_mode: 1
  - .args:
      - .address_space:  global
        .offset:         0
        .size:           8
        .value_kind:     global_buffer
      - .address_space:  global
        .offset:         8
        .size:           8
        .value_kind:     global_buffer
      - .offset:         16
        .size:           4
        .value_kind:     by_value
      - .offset:         24
        .size:           4
        .value_kind:     hidden_block_count_x
      - .offset:         28
        .size:           4
        .value_kind:     hidden_block_count_y
      - .offset:         32
        .size:           4
        .value_kind:     hidden_block_count_z
      - .offset:         36
        .size:           2
        .value_kind:     hidden_group_size_x
      - .offset:         38
        .size:           2
        .value_kind:     hidden_group_size_y
      - .offset:         40
        .size:           2
        .value_kind:     hidden_group_size_z
      - .offset:         42
        .size:           2
        .value_kind:     hidden_remainder_x
      - .offset:         44
        .size:           2
        .value_kind:     hidden_remainder_y
      - .offset:         46
        .size:           2
        .value_kind:     hidden_remainder_z
      - .offset:         64
        .size:           8
        .value_kind:     hidden_global_offset_x
      - .offset:         72
        .size:           8
        .value_kind:     hidden_global_offset_y
      - .offset:         80
        .size:           8
        .value_kind:     hidden_global_offset_z
      - .offset:         88
        .size:           2
        .value_kind:     hidden_grid_dims
    .group_segment_fixed_size: 124
    .kernarg_segment_align: 8
    .kernarg_segment_size: 280
    .language:       OpenCL C
    .language_version:
      - 2
      - 0
    .max_flat_workgroup_size: 256
    .name:           _Z6kernelI14exclusive_scanfLj31ELj100EEvPKT0_PS1_S1_
    .private_segment_fixed_size: 0
    .sgpr_count:     18
    .sgpr_spill_count: 0
    .symbol:         _Z6kernelI14exclusive_scanfLj31ELj100EEvPKT0_PS1_S1_.kd
    .uniform_work_group_size: 1
    .uses_dynamic_stack: false
    .vgpr_count:     10
    .vgpr_spill_count: 0
    .wavefront_size: 32
    .workgroup_processor_mode: 1
  - .args:
      - .address_space:  global
        .offset:         0
        .size:           8
        .value_kind:     global_buffer
      - .address_space:  global
        .offset:         8
        .size:           8
        .value_kind:     global_buffer
      - .offset:         16
        .size:           4
        .value_kind:     by_value
      - .offset:         24
        .size:           4
        .value_kind:     hidden_block_count_x
      - .offset:         28
        .size:           4
        .value_kind:     hidden_block_count_y
      - .offset:         32
        .size:           4
        .value_kind:     hidden_block_count_z
      - .offset:         36
        .size:           2
        .value_kind:     hidden_group_size_x
      - .offset:         38
        .size:           2
        .value_kind:     hidden_group_size_y
      - .offset:         40
        .size:           2
        .value_kind:     hidden_group_size_z
      - .offset:         42
        .size:           2
        .value_kind:     hidden_remainder_x
      - .offset:         44
        .size:           2
        .value_kind:     hidden_remainder_y
      - .offset:         46
        .size:           2
        .value_kind:     hidden_remainder_z
      - .offset:         64
        .size:           8
        .value_kind:     hidden_global_offset_x
      - .offset:         72
        .size:           8
        .value_kind:     hidden_global_offset_y
      - .offset:         80
        .size:           8
        .value_kind:     hidden_global_offset_z
      - .offset:         88
        .size:           2
        .value_kind:     hidden_grid_dims
    .group_segment_fixed_size: 60
    .kernarg_segment_align: 8
    .kernarg_segment_size: 280
    .language:       OpenCL C
    .language_version:
      - 2
      - 0
    .max_flat_workgroup_size: 256
    .name:           _Z6kernelI14exclusive_scanfLj15ELj100EEvPKT0_PS1_S1_
    .private_segment_fixed_size: 0
    .sgpr_count:     18
    .sgpr_spill_count: 0
    .symbol:         _Z6kernelI14exclusive_scanfLj15ELj100EEvPKT0_PS1_S1_.kd
    .uniform_work_group_size: 1
    .uses_dynamic_stack: false
    .vgpr_count:     9
    .vgpr_spill_count: 0
    .wavefront_size: 32
    .workgroup_processor_mode: 1
  - .args:
      - .address_space:  global
        .offset:         0
        .size:           8
        .value_kind:     global_buffer
      - .address_space:  global
        .offset:         8
        .size:           8
        .value_kind:     global_buffer
      - .offset:         16
        .size:           8
        .value_kind:     by_value
      - .offset:         24
        .size:           4
        .value_kind:     hidden_block_count_x
      - .offset:         28
        .size:           4
        .value_kind:     hidden_block_count_y
      - .offset:         32
        .size:           4
        .value_kind:     hidden_block_count_z
      - .offset:         36
        .size:           2
        .value_kind:     hidden_group_size_x
      - .offset:         38
        .size:           2
        .value_kind:     hidden_group_size_y
      - .offset:         40
        .size:           2
        .value_kind:     hidden_group_size_z
      - .offset:         42
        .size:           2
        .value_kind:     hidden_remainder_x
      - .offset:         44
        .size:           2
        .value_kind:     hidden_remainder_y
      - .offset:         46
        .size:           2
        .value_kind:     hidden_remainder_z
      - .offset:         64
        .size:           8
        .value_kind:     hidden_global_offset_x
      - .offset:         72
        .size:           8
        .value_kind:     hidden_global_offset_y
      - .offset:         80
        .size:           8
        .value_kind:     hidden_global_offset_z
      - .offset:         88
        .size:           2
        .value_kind:     hidden_grid_dims
    .group_segment_fixed_size: 0
    .kernarg_segment_align: 8
    .kernarg_segment_size: 280
    .language:       OpenCL C
    .language_version:
      - 2
      - 0
    .max_flat_workgroup_size: 256
    .name:           _Z6kernelI14exclusive_scandLj64ELj100EEvPKT0_PS1_S1_
    .private_segment_fixed_size: 0
    .sgpr_count:     18
    .sgpr_spill_count: 0
    .symbol:         _Z6kernelI14exclusive_scandLj64ELj100EEvPKT0_PS1_S1_.kd
    .uniform_work_group_size: 1
    .uses_dynamic_stack: false
    .vgpr_count:     4
    .vgpr_spill_count: 0
    .wavefront_size: 32
    .workgroup_processor_mode: 1
  - .args:
      - .address_space:  global
        .offset:         0
        .size:           8
        .value_kind:     global_buffer
      - .address_space:  global
        .offset:         8
        .size:           8
        .value_kind:     global_buffer
      - .offset:         16
        .size:           8
        .value_kind:     by_value
      - .offset:         24
        .size:           4
        .value_kind:     hidden_block_count_x
      - .offset:         28
        .size:           4
        .value_kind:     hidden_block_count_y
      - .offset:         32
        .size:           4
        .value_kind:     hidden_block_count_z
      - .offset:         36
        .size:           2
        .value_kind:     hidden_group_size_x
      - .offset:         38
        .size:           2
        .value_kind:     hidden_group_size_y
      - .offset:         40
        .size:           2
        .value_kind:     hidden_group_size_z
      - .offset:         42
        .size:           2
        .value_kind:     hidden_remainder_x
      - .offset:         44
        .size:           2
        .value_kind:     hidden_remainder_y
      - .offset:         46
        .size:           2
        .value_kind:     hidden_remainder_z
      - .offset:         64
        .size:           8
        .value_kind:     hidden_global_offset_x
      - .offset:         72
        .size:           8
        .value_kind:     hidden_global_offset_y
      - .offset:         80
        .size:           8
        .value_kind:     hidden_global_offset_z
      - .offset:         88
        .size:           2
        .value_kind:     hidden_grid_dims
    .group_segment_fixed_size: 0
    .kernarg_segment_align: 8
    .kernarg_segment_size: 280
    .language:       OpenCL C
    .language_version:
      - 2
      - 0
    .max_flat_workgroup_size: 256
    .name:           _Z6kernelI14exclusive_scandLj32ELj100EEvPKT0_PS1_S1_
    .private_segment_fixed_size: 0
    .sgpr_count:     18
    .sgpr_spill_count: 0
    .symbol:         _Z6kernelI14exclusive_scandLj32ELj100EEvPKT0_PS1_S1_.kd
    .uniform_work_group_size: 1
    .uses_dynamic_stack: false
    .vgpr_count:     8
    .vgpr_spill_count: 0
    .wavefront_size: 32
    .workgroup_processor_mode: 1
  - .args:
      - .address_space:  global
        .offset:         0
        .size:           8
        .value_kind:     global_buffer
      - .address_space:  global
        .offset:         8
        .size:           8
        .value_kind:     global_buffer
      - .offset:         16
        .size:           8
        .value_kind:     by_value
      - .offset:         24
        .size:           4
        .value_kind:     hidden_block_count_x
      - .offset:         28
        .size:           4
        .value_kind:     hidden_block_count_y
      - .offset:         32
        .size:           4
        .value_kind:     hidden_block_count_z
      - .offset:         36
        .size:           2
        .value_kind:     hidden_group_size_x
      - .offset:         38
        .size:           2
        .value_kind:     hidden_group_size_y
      - .offset:         40
        .size:           2
        .value_kind:     hidden_group_size_z
      - .offset:         42
        .size:           2
        .value_kind:     hidden_remainder_x
      - .offset:         44
        .size:           2
        .value_kind:     hidden_remainder_y
      - .offset:         46
        .size:           2
        .value_kind:     hidden_remainder_z
      - .offset:         64
        .size:           8
        .value_kind:     hidden_global_offset_x
      - .offset:         72
        .size:           8
        .value_kind:     hidden_global_offset_y
      - .offset:         80
        .size:           8
        .value_kind:     hidden_global_offset_z
      - .offset:         88
        .size:           2
        .value_kind:     hidden_grid_dims
    .group_segment_fixed_size: 0
    .kernarg_segment_align: 8
    .kernarg_segment_size: 280
    .language:       OpenCL C
    .language_version:
      - 2
      - 0
    .max_flat_workgroup_size: 256
    .name:           _Z6kernelI14exclusive_scandLj16ELj100EEvPKT0_PS1_S1_
    .private_segment_fixed_size: 0
    .sgpr_count:     18
    .sgpr_spill_count: 0
    .symbol:         _Z6kernelI14exclusive_scandLj16ELj100EEvPKT0_PS1_S1_.kd
    .uniform_work_group_size: 1
    .uses_dynamic_stack: false
    .vgpr_count:     8
    .vgpr_spill_count: 0
    .wavefront_size: 32
    .workgroup_processor_mode: 1
  - .args:
      - .address_space:  global
        .offset:         0
        .size:           8
        .value_kind:     global_buffer
      - .address_space:  global
        .offset:         8
        .size:           8
        .value_kind:     global_buffer
      - .offset:         16
        .size:           8
        .value_kind:     by_value
      - .offset:         24
        .size:           4
        .value_kind:     hidden_block_count_x
      - .offset:         28
        .size:           4
        .value_kind:     hidden_block_count_y
      - .offset:         32
        .size:           4
        .value_kind:     hidden_block_count_z
      - .offset:         36
        .size:           2
        .value_kind:     hidden_group_size_x
      - .offset:         38
        .size:           2
        .value_kind:     hidden_group_size_y
      - .offset:         40
        .size:           2
        .value_kind:     hidden_group_size_z
      - .offset:         42
        .size:           2
        .value_kind:     hidden_remainder_x
      - .offset:         44
        .size:           2
        .value_kind:     hidden_remainder_y
      - .offset:         46
        .size:           2
        .value_kind:     hidden_remainder_z
      - .offset:         64
        .size:           8
        .value_kind:     hidden_global_offset_x
      - .offset:         72
        .size:           8
        .value_kind:     hidden_global_offset_y
      - .offset:         80
        .size:           8
        .value_kind:     hidden_global_offset_z
      - .offset:         88
        .size:           2
        .value_kind:     hidden_grid_dims
    .group_segment_fixed_size: 0
    .kernarg_segment_align: 8
    .kernarg_segment_size: 280
    .language:       OpenCL C
    .language_version:
      - 2
      - 0
    .max_flat_workgroup_size: 256
    .name:           _Z6kernelI14exclusive_scandLj63ELj100EEvPKT0_PS1_S1_
    .private_segment_fixed_size: 0
    .sgpr_count:     18
    .sgpr_spill_count: 0
    .symbol:         _Z6kernelI14exclusive_scandLj63ELj100EEvPKT0_PS1_S1_.kd
    .uniform_work_group_size: 1
    .uses_dynamic_stack: false
    .vgpr_count:     4
    .vgpr_spill_count: 0
    .wavefront_size: 32
    .workgroup_processor_mode: 1
  - .args:
      - .address_space:  global
        .offset:         0
        .size:           8
        .value_kind:     global_buffer
      - .address_space:  global
        .offset:         8
        .size:           8
        .value_kind:     global_buffer
      - .offset:         16
        .size:           8
        .value_kind:     by_value
      - .offset:         24
        .size:           4
        .value_kind:     hidden_block_count_x
      - .offset:         28
        .size:           4
        .value_kind:     hidden_block_count_y
      - .offset:         32
        .size:           4
        .value_kind:     hidden_block_count_z
      - .offset:         36
        .size:           2
        .value_kind:     hidden_group_size_x
      - .offset:         38
        .size:           2
        .value_kind:     hidden_group_size_y
      - .offset:         40
        .size:           2
        .value_kind:     hidden_group_size_z
      - .offset:         42
        .size:           2
        .value_kind:     hidden_remainder_x
      - .offset:         44
        .size:           2
        .value_kind:     hidden_remainder_y
      - .offset:         46
        .size:           2
        .value_kind:     hidden_remainder_z
      - .offset:         64
        .size:           8
        .value_kind:     hidden_global_offset_x
      - .offset:         72
        .size:           8
        .value_kind:     hidden_global_offset_y
      - .offset:         80
        .size:           8
        .value_kind:     hidden_global_offset_z
      - .offset:         88
        .size:           2
        .value_kind:     hidden_grid_dims
    .group_segment_fixed_size: 248
    .kernarg_segment_align: 8
    .kernarg_segment_size: 280
    .language:       OpenCL C
    .language_version:
      - 2
      - 0
    .max_flat_workgroup_size: 256
    .name:           _Z6kernelI14exclusive_scandLj31ELj100EEvPKT0_PS1_S1_
    .private_segment_fixed_size: 0
    .sgpr_count:     18
    .sgpr_spill_count: 0
    .symbol:         _Z6kernelI14exclusive_scandLj31ELj100EEvPKT0_PS1_S1_.kd
    .uniform_work_group_size: 1
    .uses_dynamic_stack: false
    .vgpr_count:     12
    .vgpr_spill_count: 0
    .wavefront_size: 32
    .workgroup_processor_mode: 1
  - .args:
      - .address_space:  global
        .offset:         0
        .size:           8
        .value_kind:     global_buffer
      - .address_space:  global
        .offset:         8
        .size:           8
        .value_kind:     global_buffer
      - .offset:         16
        .size:           8
        .value_kind:     by_value
      - .offset:         24
        .size:           4
        .value_kind:     hidden_block_count_x
      - .offset:         28
        .size:           4
        .value_kind:     hidden_block_count_y
      - .offset:         32
        .size:           4
        .value_kind:     hidden_block_count_z
      - .offset:         36
        .size:           2
        .value_kind:     hidden_group_size_x
      - .offset:         38
        .size:           2
        .value_kind:     hidden_group_size_y
      - .offset:         40
        .size:           2
        .value_kind:     hidden_group_size_z
      - .offset:         42
        .size:           2
        .value_kind:     hidden_remainder_x
      - .offset:         44
        .size:           2
        .value_kind:     hidden_remainder_y
      - .offset:         46
        .size:           2
        .value_kind:     hidden_remainder_z
      - .offset:         64
        .size:           8
        .value_kind:     hidden_global_offset_x
      - .offset:         72
        .size:           8
        .value_kind:     hidden_global_offset_y
      - .offset:         80
        .size:           8
        .value_kind:     hidden_global_offset_z
      - .offset:         88
        .size:           2
        .value_kind:     hidden_grid_dims
    .group_segment_fixed_size: 120
    .kernarg_segment_align: 8
    .kernarg_segment_size: 280
    .language:       OpenCL C
    .language_version:
      - 2
      - 0
    .max_flat_workgroup_size: 256
    .name:           _Z6kernelI14exclusive_scandLj15ELj100EEvPKT0_PS1_S1_
    .private_segment_fixed_size: 0
    .sgpr_count:     18
    .sgpr_spill_count: 0
    .symbol:         _Z6kernelI14exclusive_scandLj15ELj100EEvPKT0_PS1_S1_.kd
    .uniform_work_group_size: 1
    .uses_dynamic_stack: false
    .vgpr_count:     11
    .vgpr_spill_count: 0
    .wavefront_size: 32
    .workgroup_processor_mode: 1
  - .args:
      - .address_space:  global
        .offset:         0
        .size:           8
        .value_kind:     global_buffer
      - .address_space:  global
        .offset:         8
        .size:           8
        .value_kind:     global_buffer
      - .offset:         16
        .size:           1
        .value_kind:     by_value
      - .offset:         24
        .size:           4
        .value_kind:     hidden_block_count_x
      - .offset:         28
        .size:           4
        .value_kind:     hidden_block_count_y
      - .offset:         32
        .size:           4
        .value_kind:     hidden_block_count_z
      - .offset:         36
        .size:           2
        .value_kind:     hidden_group_size_x
      - .offset:         38
        .size:           2
        .value_kind:     hidden_group_size_y
      - .offset:         40
        .size:           2
        .value_kind:     hidden_group_size_z
      - .offset:         42
        .size:           2
        .value_kind:     hidden_remainder_x
      - .offset:         44
        .size:           2
        .value_kind:     hidden_remainder_y
      - .offset:         46
        .size:           2
        .value_kind:     hidden_remainder_z
      - .offset:         64
        .size:           8
        .value_kind:     hidden_global_offset_x
      - .offset:         72
        .size:           8
        .value_kind:     hidden_global_offset_y
      - .offset:         80
        .size:           8
        .value_kind:     hidden_global_offset_z
      - .offset:         88
        .size:           2
        .value_kind:     hidden_grid_dims
    .group_segment_fixed_size: 0
    .kernarg_segment_align: 8
    .kernarg_segment_size: 280
    .language:       OpenCL C
    .language_version:
      - 2
      - 0
    .max_flat_workgroup_size: 256
    .name:           _Z6kernelI14exclusive_scanaLj64ELj100EEvPKT0_PS1_S1_
    .private_segment_fixed_size: 0
    .sgpr_count:     16
    .sgpr_spill_count: 0
    .symbol:         _Z6kernelI14exclusive_scanaLj64ELj100EEvPKT0_PS1_S1_.kd
    .uniform_work_group_size: 1
    .uses_dynamic_stack: false
    .vgpr_count:     3
    .vgpr_spill_count: 0
    .wavefront_size: 32
    .workgroup_processor_mode: 1
  - .args:
      - .address_space:  global
        .offset:         0
        .size:           8
        .value_kind:     global_buffer
      - .address_space:  global
        .offset:         8
        .size:           8
        .value_kind:     global_buffer
      - .offset:         16
        .size:           1
        .value_kind:     by_value
      - .offset:         24
        .size:           4
        .value_kind:     hidden_block_count_x
      - .offset:         28
        .size:           4
        .value_kind:     hidden_block_count_y
      - .offset:         32
        .size:           4
        .value_kind:     hidden_block_count_z
      - .offset:         36
        .size:           2
        .value_kind:     hidden_group_size_x
      - .offset:         38
        .size:           2
        .value_kind:     hidden_group_size_y
      - .offset:         40
        .size:           2
        .value_kind:     hidden_group_size_z
      - .offset:         42
        .size:           2
        .value_kind:     hidden_remainder_x
      - .offset:         44
        .size:           2
        .value_kind:     hidden_remainder_y
      - .offset:         46
        .size:           2
        .value_kind:     hidden_remainder_z
      - .offset:         64
        .size:           8
        .value_kind:     hidden_global_offset_x
      - .offset:         72
        .size:           8
        .value_kind:     hidden_global_offset_y
      - .offset:         80
        .size:           8
        .value_kind:     hidden_global_offset_z
      - .offset:         88
        .size:           2
        .value_kind:     hidden_grid_dims
    .group_segment_fixed_size: 0
    .kernarg_segment_align: 8
    .kernarg_segment_size: 280
    .language:       OpenCL C
    .language_version:
      - 2
      - 0
    .max_flat_workgroup_size: 256
    .name:           _Z6kernelI14exclusive_scanaLj32ELj100EEvPKT0_PS1_S1_
    .private_segment_fixed_size: 0
    .sgpr_count:     18
    .sgpr_spill_count: 0
    .symbol:         _Z6kernelI14exclusive_scanaLj32ELj100EEvPKT0_PS1_S1_.kd
    .uniform_work_group_size: 1
    .uses_dynamic_stack: false
    .vgpr_count:     6
    .vgpr_spill_count: 0
    .wavefront_size: 32
    .workgroup_processor_mode: 1
  - .args:
      - .address_space:  global
        .offset:         0
        .size:           8
        .value_kind:     global_buffer
      - .address_space:  global
        .offset:         8
        .size:           8
        .value_kind:     global_buffer
      - .offset:         16
        .size:           1
        .value_kind:     by_value
      - .offset:         24
        .size:           4
        .value_kind:     hidden_block_count_x
      - .offset:         28
        .size:           4
        .value_kind:     hidden_block_count_y
      - .offset:         32
        .size:           4
        .value_kind:     hidden_block_count_z
      - .offset:         36
        .size:           2
        .value_kind:     hidden_group_size_x
      - .offset:         38
        .size:           2
        .value_kind:     hidden_group_size_y
      - .offset:         40
        .size:           2
        .value_kind:     hidden_group_size_z
      - .offset:         42
        .size:           2
        .value_kind:     hidden_remainder_x
      - .offset:         44
        .size:           2
        .value_kind:     hidden_remainder_y
      - .offset:         46
        .size:           2
        .value_kind:     hidden_remainder_z
      - .offset:         64
        .size:           8
        .value_kind:     hidden_global_offset_x
      - .offset:         72
        .size:           8
        .value_kind:     hidden_global_offset_y
      - .offset:         80
        .size:           8
        .value_kind:     hidden_global_offset_z
      - .offset:         88
        .size:           2
        .value_kind:     hidden_grid_dims
    .group_segment_fixed_size: 0
    .kernarg_segment_align: 8
    .kernarg_segment_size: 280
    .language:       OpenCL C
    .language_version:
      - 2
      - 0
    .max_flat_workgroup_size: 256
    .name:           _Z6kernelI14exclusive_scanaLj16ELj100EEvPKT0_PS1_S1_
    .private_segment_fixed_size: 0
    .sgpr_count:     18
    .sgpr_spill_count: 0
    .symbol:         _Z6kernelI14exclusive_scanaLj16ELj100EEvPKT0_PS1_S1_.kd
    .uniform_work_group_size: 1
    .uses_dynamic_stack: false
    .vgpr_count:     6
    .vgpr_spill_count: 0
    .wavefront_size: 32
    .workgroup_processor_mode: 1
  - .args:
      - .address_space:  global
        .offset:         0
        .size:           8
        .value_kind:     global_buffer
      - .address_space:  global
        .offset:         8
        .size:           8
        .value_kind:     global_buffer
      - .offset:         16
        .size:           1
        .value_kind:     by_value
      - .offset:         24
        .size:           4
        .value_kind:     hidden_block_count_x
      - .offset:         28
        .size:           4
        .value_kind:     hidden_block_count_y
      - .offset:         32
        .size:           4
        .value_kind:     hidden_block_count_z
      - .offset:         36
        .size:           2
        .value_kind:     hidden_group_size_x
      - .offset:         38
        .size:           2
        .value_kind:     hidden_group_size_y
      - .offset:         40
        .size:           2
        .value_kind:     hidden_group_size_z
      - .offset:         42
        .size:           2
        .value_kind:     hidden_remainder_x
      - .offset:         44
        .size:           2
        .value_kind:     hidden_remainder_y
      - .offset:         46
        .size:           2
        .value_kind:     hidden_remainder_z
      - .offset:         64
        .size:           8
        .value_kind:     hidden_global_offset_x
      - .offset:         72
        .size:           8
        .value_kind:     hidden_global_offset_y
      - .offset:         80
        .size:           8
        .value_kind:     hidden_global_offset_z
      - .offset:         88
        .size:           2
        .value_kind:     hidden_grid_dims
    .group_segment_fixed_size: 0
    .kernarg_segment_align: 8
    .kernarg_segment_size: 280
    .language:       OpenCL C
    .language_version:
      - 2
      - 0
    .max_flat_workgroup_size: 256
    .name:           _Z6kernelI14exclusive_scanaLj63ELj100EEvPKT0_PS1_S1_
    .private_segment_fixed_size: 0
    .sgpr_count:     16
    .sgpr_spill_count: 0
    .symbol:         _Z6kernelI14exclusive_scanaLj63ELj100EEvPKT0_PS1_S1_.kd
    .uniform_work_group_size: 1
    .uses_dynamic_stack: false
    .vgpr_count:     3
    .vgpr_spill_count: 0
    .wavefront_size: 32
    .workgroup_processor_mode: 1
  - .args:
      - .address_space:  global
        .offset:         0
        .size:           8
        .value_kind:     global_buffer
      - .address_space:  global
        .offset:         8
        .size:           8
        .value_kind:     global_buffer
      - .offset:         16
        .size:           1
        .value_kind:     by_value
      - .offset:         24
        .size:           4
        .value_kind:     hidden_block_count_x
      - .offset:         28
        .size:           4
        .value_kind:     hidden_block_count_y
      - .offset:         32
        .size:           4
        .value_kind:     hidden_block_count_z
      - .offset:         36
        .size:           2
        .value_kind:     hidden_group_size_x
      - .offset:         38
        .size:           2
        .value_kind:     hidden_group_size_y
      - .offset:         40
        .size:           2
        .value_kind:     hidden_group_size_z
      - .offset:         42
        .size:           2
        .value_kind:     hidden_remainder_x
      - .offset:         44
        .size:           2
        .value_kind:     hidden_remainder_y
      - .offset:         46
        .size:           2
        .value_kind:     hidden_remainder_z
      - .offset:         64
        .size:           8
        .value_kind:     hidden_global_offset_x
      - .offset:         72
        .size:           8
        .value_kind:     hidden_global_offset_y
      - .offset:         80
        .size:           8
        .value_kind:     hidden_global_offset_z
      - .offset:         88
        .size:           2
        .value_kind:     hidden_grid_dims
    .group_segment_fixed_size: 31
    .kernarg_segment_align: 8
    .kernarg_segment_size: 280
    .language:       OpenCL C
    .language_version:
      - 2
      - 0
    .max_flat_workgroup_size: 256
    .name:           _Z6kernelI14exclusive_scanaLj31ELj100EEvPKT0_PS1_S1_
    .private_segment_fixed_size: 0
    .sgpr_count:     18
    .sgpr_spill_count: 0
    .symbol:         _Z6kernelI14exclusive_scanaLj31ELj100EEvPKT0_PS1_S1_.kd
    .uniform_work_group_size: 1
    .uses_dynamic_stack: false
    .vgpr_count:     9
    .vgpr_spill_count: 0
    .wavefront_size: 32
    .workgroup_processor_mode: 1
  - .args:
      - .address_space:  global
        .offset:         0
        .size:           8
        .value_kind:     global_buffer
      - .address_space:  global
        .offset:         8
        .size:           8
        .value_kind:     global_buffer
      - .offset:         16
        .size:           1
        .value_kind:     by_value
      - .offset:         24
        .size:           4
        .value_kind:     hidden_block_count_x
      - .offset:         28
        .size:           4
        .value_kind:     hidden_block_count_y
      - .offset:         32
        .size:           4
        .value_kind:     hidden_block_count_z
      - .offset:         36
        .size:           2
        .value_kind:     hidden_group_size_x
      - .offset:         38
        .size:           2
        .value_kind:     hidden_group_size_y
      - .offset:         40
        .size:           2
        .value_kind:     hidden_group_size_z
      - .offset:         42
        .size:           2
        .value_kind:     hidden_remainder_x
      - .offset:         44
        .size:           2
        .value_kind:     hidden_remainder_y
      - .offset:         46
        .size:           2
        .value_kind:     hidden_remainder_z
      - .offset:         64
        .size:           8
        .value_kind:     hidden_global_offset_x
      - .offset:         72
        .size:           8
        .value_kind:     hidden_global_offset_y
      - .offset:         80
        .size:           8
        .value_kind:     hidden_global_offset_z
      - .offset:         88
        .size:           2
        .value_kind:     hidden_grid_dims
    .group_segment_fixed_size: 15
    .kernarg_segment_align: 8
    .kernarg_segment_size: 280
    .language:       OpenCL C
    .language_version:
      - 2
      - 0
    .max_flat_workgroup_size: 256
    .name:           _Z6kernelI14exclusive_scanaLj15ELj100EEvPKT0_PS1_S1_
    .private_segment_fixed_size: 0
    .sgpr_count:     18
    .sgpr_spill_count: 0
    .symbol:         _Z6kernelI14exclusive_scanaLj15ELj100EEvPKT0_PS1_S1_.kd
    .uniform_work_group_size: 1
    .uses_dynamic_stack: false
    .vgpr_count:     8
    .vgpr_spill_count: 0
    .wavefront_size: 32
    .workgroup_processor_mode: 1
  - .args:
      - .address_space:  global
        .offset:         0
        .size:           8
        .value_kind:     global_buffer
      - .address_space:  global
        .offset:         8
        .size:           8
        .value_kind:     global_buffer
      - .offset:         16
        .size:           1
        .value_kind:     by_value
      - .offset:         24
        .size:           4
        .value_kind:     hidden_block_count_x
      - .offset:         28
        .size:           4
        .value_kind:     hidden_block_count_y
      - .offset:         32
        .size:           4
        .value_kind:     hidden_block_count_z
      - .offset:         36
        .size:           2
        .value_kind:     hidden_group_size_x
      - .offset:         38
        .size:           2
        .value_kind:     hidden_group_size_y
      - .offset:         40
        .size:           2
        .value_kind:     hidden_group_size_z
      - .offset:         42
        .size:           2
        .value_kind:     hidden_remainder_x
      - .offset:         44
        .size:           2
        .value_kind:     hidden_remainder_y
      - .offset:         46
        .size:           2
        .value_kind:     hidden_remainder_z
      - .offset:         64
        .size:           8
        .value_kind:     hidden_global_offset_x
      - .offset:         72
        .size:           8
        .value_kind:     hidden_global_offset_y
      - .offset:         80
        .size:           8
        .value_kind:     hidden_global_offset_z
      - .offset:         88
        .size:           2
        .value_kind:     hidden_grid_dims
    .group_segment_fixed_size: 0
    .kernarg_segment_align: 8
    .kernarg_segment_size: 280
    .language:       OpenCL C
    .language_version:
      - 2
      - 0
    .max_flat_workgroup_size: 256
    .name:           _Z6kernelI14exclusive_scanhLj64ELj100EEvPKT0_PS1_S1_
    .private_segment_fixed_size: 0
    .sgpr_count:     16
    .sgpr_spill_count: 0
    .symbol:         _Z6kernelI14exclusive_scanhLj64ELj100EEvPKT0_PS1_S1_.kd
    .uniform_work_group_size: 1
    .uses_dynamic_stack: false
    .vgpr_count:     3
    .vgpr_spill_count: 0
    .wavefront_size: 32
    .workgroup_processor_mode: 1
  - .args:
      - .address_space:  global
        .offset:         0
        .size:           8
        .value_kind:     global_buffer
      - .address_space:  global
        .offset:         8
        .size:           8
        .value_kind:     global_buffer
      - .offset:         16
        .size:           1
        .value_kind:     by_value
      - .offset:         24
        .size:           4
        .value_kind:     hidden_block_count_x
      - .offset:         28
        .size:           4
        .value_kind:     hidden_block_count_y
      - .offset:         32
        .size:           4
        .value_kind:     hidden_block_count_z
      - .offset:         36
        .size:           2
        .value_kind:     hidden_group_size_x
      - .offset:         38
        .size:           2
        .value_kind:     hidden_group_size_y
      - .offset:         40
        .size:           2
        .value_kind:     hidden_group_size_z
      - .offset:         42
        .size:           2
        .value_kind:     hidden_remainder_x
      - .offset:         44
        .size:           2
        .value_kind:     hidden_remainder_y
      - .offset:         46
        .size:           2
        .value_kind:     hidden_remainder_z
      - .offset:         64
        .size:           8
        .value_kind:     hidden_global_offset_x
      - .offset:         72
        .size:           8
        .value_kind:     hidden_global_offset_y
      - .offset:         80
        .size:           8
        .value_kind:     hidden_global_offset_z
      - .offset:         88
        .size:           2
        .value_kind:     hidden_grid_dims
    .group_segment_fixed_size: 0
    .kernarg_segment_align: 8
    .kernarg_segment_size: 280
    .language:       OpenCL C
    .language_version:
      - 2
      - 0
    .max_flat_workgroup_size: 256
    .name:           _Z6kernelI14exclusive_scanhLj32ELj100EEvPKT0_PS1_S1_
    .private_segment_fixed_size: 0
    .sgpr_count:     18
    .sgpr_spill_count: 0
    .symbol:         _Z6kernelI14exclusive_scanhLj32ELj100EEvPKT0_PS1_S1_.kd
    .uniform_work_group_size: 1
    .uses_dynamic_stack: false
    .vgpr_count:     6
    .vgpr_spill_count: 0
    .wavefront_size: 32
    .workgroup_processor_mode: 1
  - .args:
      - .address_space:  global
        .offset:         0
        .size:           8
        .value_kind:     global_buffer
      - .address_space:  global
        .offset:         8
        .size:           8
        .value_kind:     global_buffer
      - .offset:         16
        .size:           1
        .value_kind:     by_value
      - .offset:         24
        .size:           4
        .value_kind:     hidden_block_count_x
      - .offset:         28
        .size:           4
        .value_kind:     hidden_block_count_y
      - .offset:         32
        .size:           4
        .value_kind:     hidden_block_count_z
      - .offset:         36
        .size:           2
        .value_kind:     hidden_group_size_x
      - .offset:         38
        .size:           2
        .value_kind:     hidden_group_size_y
      - .offset:         40
        .size:           2
        .value_kind:     hidden_group_size_z
      - .offset:         42
        .size:           2
        .value_kind:     hidden_remainder_x
      - .offset:         44
        .size:           2
        .value_kind:     hidden_remainder_y
      - .offset:         46
        .size:           2
        .value_kind:     hidden_remainder_z
      - .offset:         64
        .size:           8
        .value_kind:     hidden_global_offset_x
      - .offset:         72
        .size:           8
        .value_kind:     hidden_global_offset_y
      - .offset:         80
        .size:           8
        .value_kind:     hidden_global_offset_z
      - .offset:         88
        .size:           2
        .value_kind:     hidden_grid_dims
    .group_segment_fixed_size: 0
    .kernarg_segment_align: 8
    .kernarg_segment_size: 280
    .language:       OpenCL C
    .language_version:
      - 2
      - 0
    .max_flat_workgroup_size: 256
    .name:           _Z6kernelI14exclusive_scanhLj16ELj100EEvPKT0_PS1_S1_
    .private_segment_fixed_size: 0
    .sgpr_count:     18
    .sgpr_spill_count: 0
    .symbol:         _Z6kernelI14exclusive_scanhLj16ELj100EEvPKT0_PS1_S1_.kd
    .uniform_work_group_size: 1
    .uses_dynamic_stack: false
    .vgpr_count:     6
    .vgpr_spill_count: 0
    .wavefront_size: 32
    .workgroup_processor_mode: 1
  - .args:
      - .address_space:  global
        .offset:         0
        .size:           8
        .value_kind:     global_buffer
      - .address_space:  global
        .offset:         8
        .size:           8
        .value_kind:     global_buffer
      - .offset:         16
        .size:           1
        .value_kind:     by_value
      - .offset:         24
        .size:           4
        .value_kind:     hidden_block_count_x
      - .offset:         28
        .size:           4
        .value_kind:     hidden_block_count_y
      - .offset:         32
        .size:           4
        .value_kind:     hidden_block_count_z
      - .offset:         36
        .size:           2
        .value_kind:     hidden_group_size_x
      - .offset:         38
        .size:           2
        .value_kind:     hidden_group_size_y
      - .offset:         40
        .size:           2
        .value_kind:     hidden_group_size_z
      - .offset:         42
        .size:           2
        .value_kind:     hidden_remainder_x
      - .offset:         44
        .size:           2
        .value_kind:     hidden_remainder_y
      - .offset:         46
        .size:           2
        .value_kind:     hidden_remainder_z
      - .offset:         64
        .size:           8
        .value_kind:     hidden_global_offset_x
      - .offset:         72
        .size:           8
        .value_kind:     hidden_global_offset_y
      - .offset:         80
        .size:           8
        .value_kind:     hidden_global_offset_z
      - .offset:         88
        .size:           2
        .value_kind:     hidden_grid_dims
    .group_segment_fixed_size: 0
    .kernarg_segment_align: 8
    .kernarg_segment_size: 280
    .language:       OpenCL C
    .language_version:
      - 2
      - 0
    .max_flat_workgroup_size: 256
    .name:           _Z6kernelI14exclusive_scanhLj63ELj100EEvPKT0_PS1_S1_
    .private_segment_fixed_size: 0
    .sgpr_count:     16
    .sgpr_spill_count: 0
    .symbol:         _Z6kernelI14exclusive_scanhLj63ELj100EEvPKT0_PS1_S1_.kd
    .uniform_work_group_size: 1
    .uses_dynamic_stack: false
    .vgpr_count:     3
    .vgpr_spill_count: 0
    .wavefront_size: 32
    .workgroup_processor_mode: 1
  - .args:
      - .address_space:  global
        .offset:         0
        .size:           8
        .value_kind:     global_buffer
      - .address_space:  global
        .offset:         8
        .size:           8
        .value_kind:     global_buffer
      - .offset:         16
        .size:           1
        .value_kind:     by_value
      - .offset:         24
        .size:           4
        .value_kind:     hidden_block_count_x
      - .offset:         28
        .size:           4
        .value_kind:     hidden_block_count_y
      - .offset:         32
        .size:           4
        .value_kind:     hidden_block_count_z
      - .offset:         36
        .size:           2
        .value_kind:     hidden_group_size_x
      - .offset:         38
        .size:           2
        .value_kind:     hidden_group_size_y
      - .offset:         40
        .size:           2
        .value_kind:     hidden_group_size_z
      - .offset:         42
        .size:           2
        .value_kind:     hidden_remainder_x
      - .offset:         44
        .size:           2
        .value_kind:     hidden_remainder_y
      - .offset:         46
        .size:           2
        .value_kind:     hidden_remainder_z
      - .offset:         64
        .size:           8
        .value_kind:     hidden_global_offset_x
      - .offset:         72
        .size:           8
        .value_kind:     hidden_global_offset_y
      - .offset:         80
        .size:           8
        .value_kind:     hidden_global_offset_z
      - .offset:         88
        .size:           2
        .value_kind:     hidden_grid_dims
    .group_segment_fixed_size: 31
    .kernarg_segment_align: 8
    .kernarg_segment_size: 280
    .language:       OpenCL C
    .language_version:
      - 2
      - 0
    .max_flat_workgroup_size: 256
    .name:           _Z6kernelI14exclusive_scanhLj31ELj100EEvPKT0_PS1_S1_
    .private_segment_fixed_size: 0
    .sgpr_count:     18
    .sgpr_spill_count: 0
    .symbol:         _Z6kernelI14exclusive_scanhLj31ELj100EEvPKT0_PS1_S1_.kd
    .uniform_work_group_size: 1
    .uses_dynamic_stack: false
    .vgpr_count:     9
    .vgpr_spill_count: 0
    .wavefront_size: 32
    .workgroup_processor_mode: 1
  - .args:
      - .address_space:  global
        .offset:         0
        .size:           8
        .value_kind:     global_buffer
      - .address_space:  global
        .offset:         8
        .size:           8
        .value_kind:     global_buffer
      - .offset:         16
        .size:           1
        .value_kind:     by_value
      - .offset:         24
        .size:           4
        .value_kind:     hidden_block_count_x
      - .offset:         28
        .size:           4
        .value_kind:     hidden_block_count_y
      - .offset:         32
        .size:           4
        .value_kind:     hidden_block_count_z
      - .offset:         36
        .size:           2
        .value_kind:     hidden_group_size_x
      - .offset:         38
        .size:           2
        .value_kind:     hidden_group_size_y
      - .offset:         40
        .size:           2
        .value_kind:     hidden_group_size_z
      - .offset:         42
        .size:           2
        .value_kind:     hidden_remainder_x
      - .offset:         44
        .size:           2
        .value_kind:     hidden_remainder_y
      - .offset:         46
        .size:           2
        .value_kind:     hidden_remainder_z
      - .offset:         64
        .size:           8
        .value_kind:     hidden_global_offset_x
      - .offset:         72
        .size:           8
        .value_kind:     hidden_global_offset_y
      - .offset:         80
        .size:           8
        .value_kind:     hidden_global_offset_z
      - .offset:         88
        .size:           2
        .value_kind:     hidden_grid_dims
    .group_segment_fixed_size: 15
    .kernarg_segment_align: 8
    .kernarg_segment_size: 280
    .language:       OpenCL C
    .language_version:
      - 2
      - 0
    .max_flat_workgroup_size: 256
    .name:           _Z6kernelI14exclusive_scanhLj15ELj100EEvPKT0_PS1_S1_
    .private_segment_fixed_size: 0
    .sgpr_count:     18
    .sgpr_spill_count: 0
    .symbol:         _Z6kernelI14exclusive_scanhLj15ELj100EEvPKT0_PS1_S1_.kd
    .uniform_work_group_size: 1
    .uses_dynamic_stack: false
    .vgpr_count:     8
    .vgpr_spill_count: 0
    .wavefront_size: 32
    .workgroup_processor_mode: 1
  - .args:
      - .address_space:  global
        .offset:         0
        .size:           8
        .value_kind:     global_buffer
      - .address_space:  global
        .offset:         8
        .size:           8
        .value_kind:     global_buffer
      - .offset:         16
        .size:           2
        .value_kind:     by_value
      - .offset:         24
        .size:           4
        .value_kind:     hidden_block_count_x
      - .offset:         28
        .size:           4
        .value_kind:     hidden_block_count_y
      - .offset:         32
        .size:           4
        .value_kind:     hidden_block_count_z
      - .offset:         36
        .size:           2
        .value_kind:     hidden_group_size_x
      - .offset:         38
        .size:           2
        .value_kind:     hidden_group_size_y
      - .offset:         40
        .size:           2
        .value_kind:     hidden_group_size_z
      - .offset:         42
        .size:           2
        .value_kind:     hidden_remainder_x
      - .offset:         44
        .size:           2
        .value_kind:     hidden_remainder_y
      - .offset:         46
        .size:           2
        .value_kind:     hidden_remainder_z
      - .offset:         64
        .size:           8
        .value_kind:     hidden_global_offset_x
      - .offset:         72
        .size:           8
        .value_kind:     hidden_global_offset_y
      - .offset:         80
        .size:           8
        .value_kind:     hidden_global_offset_z
      - .offset:         88
        .size:           2
        .value_kind:     hidden_grid_dims
    .group_segment_fixed_size: 0
    .kernarg_segment_align: 8
    .kernarg_segment_size: 280
    .language:       OpenCL C
    .language_version:
      - 2
      - 0
    .max_flat_workgroup_size: 256
    .name:           _Z6kernelI14exclusive_scan6__halfLj64ELj100EEvPKT0_PS2_S2_
    .private_segment_fixed_size: 0
    .sgpr_count:     18
    .sgpr_spill_count: 0
    .symbol:         _Z6kernelI14exclusive_scan6__halfLj64ELj100EEvPKT0_PS2_S2_.kd
    .uniform_work_group_size: 1
    .uses_dynamic_stack: false
    .vgpr_count:     4
    .vgpr_spill_count: 0
    .wavefront_size: 32
    .workgroup_processor_mode: 1
  - .args:
      - .address_space:  global
        .offset:         0
        .size:           8
        .value_kind:     global_buffer
      - .address_space:  global
        .offset:         8
        .size:           8
        .value_kind:     global_buffer
      - .offset:         16
        .size:           2
        .value_kind:     by_value
      - .offset:         24
        .size:           4
        .value_kind:     hidden_block_count_x
      - .offset:         28
        .size:           4
        .value_kind:     hidden_block_count_y
      - .offset:         32
        .size:           4
        .value_kind:     hidden_block_count_z
      - .offset:         36
        .size:           2
        .value_kind:     hidden_group_size_x
      - .offset:         38
        .size:           2
        .value_kind:     hidden_group_size_y
      - .offset:         40
        .size:           2
        .value_kind:     hidden_group_size_z
      - .offset:         42
        .size:           2
        .value_kind:     hidden_remainder_x
      - .offset:         44
        .size:           2
        .value_kind:     hidden_remainder_y
      - .offset:         46
        .size:           2
        .value_kind:     hidden_remainder_z
      - .offset:         64
        .size:           8
        .value_kind:     hidden_global_offset_x
      - .offset:         72
        .size:           8
        .value_kind:     hidden_global_offset_y
      - .offset:         80
        .size:           8
        .value_kind:     hidden_global_offset_z
      - .offset:         88
        .size:           2
        .value_kind:     hidden_grid_dims
    .group_segment_fixed_size: 0
    .kernarg_segment_align: 8
    .kernarg_segment_size: 280
    .language:       OpenCL C
    .language_version:
      - 2
      - 0
    .max_flat_workgroup_size: 256
    .name:           _Z6kernelI14exclusive_scan6__halfLj32ELj100EEvPKT0_PS2_S2_
    .private_segment_fixed_size: 0
    .sgpr_count:     18
    .sgpr_spill_count: 0
    .symbol:         _Z6kernelI14exclusive_scan6__halfLj32ELj100EEvPKT0_PS2_S2_.kd
    .uniform_work_group_size: 1
    .uses_dynamic_stack: false
    .vgpr_count:     7
    .vgpr_spill_count: 0
    .wavefront_size: 32
    .workgroup_processor_mode: 1
  - .args:
      - .address_space:  global
        .offset:         0
        .size:           8
        .value_kind:     global_buffer
      - .address_space:  global
        .offset:         8
        .size:           8
        .value_kind:     global_buffer
      - .offset:         16
        .size:           2
        .value_kind:     by_value
      - .offset:         24
        .size:           4
        .value_kind:     hidden_block_count_x
      - .offset:         28
        .size:           4
        .value_kind:     hidden_block_count_y
      - .offset:         32
        .size:           4
        .value_kind:     hidden_block_count_z
      - .offset:         36
        .size:           2
        .value_kind:     hidden_group_size_x
      - .offset:         38
        .size:           2
        .value_kind:     hidden_group_size_y
      - .offset:         40
        .size:           2
        .value_kind:     hidden_group_size_z
      - .offset:         42
        .size:           2
        .value_kind:     hidden_remainder_x
      - .offset:         44
        .size:           2
        .value_kind:     hidden_remainder_y
      - .offset:         46
        .size:           2
        .value_kind:     hidden_remainder_z
      - .offset:         64
        .size:           8
        .value_kind:     hidden_global_offset_x
      - .offset:         72
        .size:           8
        .value_kind:     hidden_global_offset_y
      - .offset:         80
        .size:           8
        .value_kind:     hidden_global_offset_z
      - .offset:         88
        .size:           2
        .value_kind:     hidden_grid_dims
    .group_segment_fixed_size: 0
    .kernarg_segment_align: 8
    .kernarg_segment_size: 280
    .language:       OpenCL C
    .language_version:
      - 2
      - 0
    .max_flat_workgroup_size: 256
    .name:           _Z6kernelI14exclusive_scan6__halfLj16ELj100EEvPKT0_PS2_S2_
    .private_segment_fixed_size: 0
    .sgpr_count:     18
    .sgpr_spill_count: 0
    .symbol:         _Z6kernelI14exclusive_scan6__halfLj16ELj100EEvPKT0_PS2_S2_.kd
    .uniform_work_group_size: 1
    .uses_dynamic_stack: false
    .vgpr_count:     7
    .vgpr_spill_count: 0
    .wavefront_size: 32
    .workgroup_processor_mode: 1
  - .args:
      - .address_space:  global
        .offset:         0
        .size:           8
        .value_kind:     global_buffer
      - .address_space:  global
        .offset:         8
        .size:           8
        .value_kind:     global_buffer
      - .offset:         16
        .size:           2
        .value_kind:     by_value
      - .offset:         24
        .size:           4
        .value_kind:     hidden_block_count_x
      - .offset:         28
        .size:           4
        .value_kind:     hidden_block_count_y
      - .offset:         32
        .size:           4
        .value_kind:     hidden_block_count_z
      - .offset:         36
        .size:           2
        .value_kind:     hidden_group_size_x
      - .offset:         38
        .size:           2
        .value_kind:     hidden_group_size_y
      - .offset:         40
        .size:           2
        .value_kind:     hidden_group_size_z
      - .offset:         42
        .size:           2
        .value_kind:     hidden_remainder_x
      - .offset:         44
        .size:           2
        .value_kind:     hidden_remainder_y
      - .offset:         46
        .size:           2
        .value_kind:     hidden_remainder_z
      - .offset:         64
        .size:           8
        .value_kind:     hidden_global_offset_x
      - .offset:         72
        .size:           8
        .value_kind:     hidden_global_offset_y
      - .offset:         80
        .size:           8
        .value_kind:     hidden_global_offset_z
      - .offset:         88
        .size:           2
        .value_kind:     hidden_grid_dims
    .group_segment_fixed_size: 0
    .kernarg_segment_align: 8
    .kernarg_segment_size: 280
    .language:       OpenCL C
    .language_version:
      - 2
      - 0
    .max_flat_workgroup_size: 256
    .name:           _Z6kernelI14exclusive_scan6__halfLj63ELj100EEvPKT0_PS2_S2_
    .private_segment_fixed_size: 0
    .sgpr_count:     18
    .sgpr_spill_count: 0
    .symbol:         _Z6kernelI14exclusive_scan6__halfLj63ELj100EEvPKT0_PS2_S2_.kd
    .uniform_work_group_size: 1
    .uses_dynamic_stack: false
    .vgpr_count:     4
    .vgpr_spill_count: 0
    .wavefront_size: 32
    .workgroup_processor_mode: 1
  - .args:
      - .address_space:  global
        .offset:         0
        .size:           8
        .value_kind:     global_buffer
      - .address_space:  global
        .offset:         8
        .size:           8
        .value_kind:     global_buffer
      - .offset:         16
        .size:           2
        .value_kind:     by_value
      - .offset:         24
        .size:           4
        .value_kind:     hidden_block_count_x
      - .offset:         28
        .size:           4
        .value_kind:     hidden_block_count_y
      - .offset:         32
        .size:           4
        .value_kind:     hidden_block_count_z
      - .offset:         36
        .size:           2
        .value_kind:     hidden_group_size_x
      - .offset:         38
        .size:           2
        .value_kind:     hidden_group_size_y
      - .offset:         40
        .size:           2
        .value_kind:     hidden_group_size_z
      - .offset:         42
        .size:           2
        .value_kind:     hidden_remainder_x
      - .offset:         44
        .size:           2
        .value_kind:     hidden_remainder_y
      - .offset:         46
        .size:           2
        .value_kind:     hidden_remainder_z
      - .offset:         64
        .size:           8
        .value_kind:     hidden_global_offset_x
      - .offset:         72
        .size:           8
        .value_kind:     hidden_global_offset_y
      - .offset:         80
        .size:           8
        .value_kind:     hidden_global_offset_z
      - .offset:         88
        .size:           2
        .value_kind:     hidden_grid_dims
    .group_segment_fixed_size: 62
    .kernarg_segment_align: 8
    .kernarg_segment_size: 280
    .language:       OpenCL C
    .language_version:
      - 2
      - 0
    .max_flat_workgroup_size: 256
    .name:           _Z6kernelI14exclusive_scan6__halfLj31ELj100EEvPKT0_PS2_S2_
    .private_segment_fixed_size: 0
    .sgpr_count:     18
    .sgpr_spill_count: 0
    .symbol:         _Z6kernelI14exclusive_scan6__halfLj31ELj100EEvPKT0_PS2_S2_.kd
    .uniform_work_group_size: 1
    .uses_dynamic_stack: false
    .vgpr_count:     10
    .vgpr_spill_count: 0
    .wavefront_size: 32
    .workgroup_processor_mode: 1
  - .args:
      - .address_space:  global
        .offset:         0
        .size:           8
        .value_kind:     global_buffer
      - .address_space:  global
        .offset:         8
        .size:           8
        .value_kind:     global_buffer
      - .offset:         16
        .size:           2
        .value_kind:     by_value
      - .offset:         24
        .size:           4
        .value_kind:     hidden_block_count_x
      - .offset:         28
        .size:           4
        .value_kind:     hidden_block_count_y
      - .offset:         32
        .size:           4
        .value_kind:     hidden_block_count_z
      - .offset:         36
        .size:           2
        .value_kind:     hidden_group_size_x
      - .offset:         38
        .size:           2
        .value_kind:     hidden_group_size_y
      - .offset:         40
        .size:           2
        .value_kind:     hidden_group_size_z
      - .offset:         42
        .size:           2
        .value_kind:     hidden_remainder_x
      - .offset:         44
        .size:           2
        .value_kind:     hidden_remainder_y
      - .offset:         46
        .size:           2
        .value_kind:     hidden_remainder_z
      - .offset:         64
        .size:           8
        .value_kind:     hidden_global_offset_x
      - .offset:         72
        .size:           8
        .value_kind:     hidden_global_offset_y
      - .offset:         80
        .size:           8
        .value_kind:     hidden_global_offset_z
      - .offset:         88
        .size:           2
        .value_kind:     hidden_grid_dims
    .group_segment_fixed_size: 30
    .kernarg_segment_align: 8
    .kernarg_segment_size: 280
    .language:       OpenCL C
    .language_version:
      - 2
      - 0
    .max_flat_workgroup_size: 256
    .name:           _Z6kernelI14exclusive_scan6__halfLj15ELj100EEvPKT0_PS2_S2_
    .private_segment_fixed_size: 0
    .sgpr_count:     18
    .sgpr_spill_count: 0
    .symbol:         _Z6kernelI14exclusive_scan6__halfLj15ELj100EEvPKT0_PS2_S2_.kd
    .uniform_work_group_size: 1
    .uses_dynamic_stack: false
    .vgpr_count:     9
    .vgpr_spill_count: 0
    .wavefront_size: 32
    .workgroup_processor_mode: 1
  - .args:
      - .address_space:  global
        .offset:         0
        .size:           8
        .value_kind:     global_buffer
      - .address_space:  global
        .offset:         8
        .size:           8
        .value_kind:     global_buffer
      - .offset:         16
        .size:           16
        .value_kind:     by_value
      - .offset:         32
        .size:           4
        .value_kind:     hidden_block_count_x
      - .offset:         36
        .size:           4
        .value_kind:     hidden_block_count_y
      - .offset:         40
        .size:           4
        .value_kind:     hidden_block_count_z
      - .offset:         44
        .size:           2
        .value_kind:     hidden_group_size_x
      - .offset:         46
        .size:           2
        .value_kind:     hidden_group_size_y
      - .offset:         48
        .size:           2
        .value_kind:     hidden_group_size_z
      - .offset:         50
        .size:           2
        .value_kind:     hidden_remainder_x
      - .offset:         52
        .size:           2
        .value_kind:     hidden_remainder_y
      - .offset:         54
        .size:           2
        .value_kind:     hidden_remainder_z
      - .offset:         72
        .size:           8
        .value_kind:     hidden_global_offset_x
      - .offset:         80
        .size:           8
        .value_kind:     hidden_global_offset_y
      - .offset:         88
        .size:           8
        .value_kind:     hidden_global_offset_z
      - .offset:         96
        .size:           2
        .value_kind:     hidden_grid_dims
    .group_segment_fixed_size: 0
    .kernarg_segment_align: 8
    .kernarg_segment_size: 288
    .language:       OpenCL C
    .language_version:
      - 2
      - 0
    .max_flat_workgroup_size: 256
    .name:           _Z6kernelI14exclusive_scanN6common11custom_typeIddLb0EEELj64ELj100EEvPKT0_PS4_S4_
    .private_segment_fixed_size: 0
    .sgpr_count:     18
    .sgpr_spill_count: 0
    .symbol:         _Z6kernelI14exclusive_scanN6common11custom_typeIddLb0EEELj64ELj100EEvPKT0_PS4_S4_.kd
    .uniform_work_group_size: 1
    .uses_dynamic_stack: false
    .vgpr_count:     6
    .vgpr_spill_count: 0
    .wavefront_size: 32
    .workgroup_processor_mode: 1
  - .args:
      - .address_space:  global
        .offset:         0
        .size:           8
        .value_kind:     global_buffer
      - .address_space:  global
        .offset:         8
        .size:           8
        .value_kind:     global_buffer
      - .offset:         16
        .size:           16
        .value_kind:     by_value
      - .offset:         32
        .size:           4
        .value_kind:     hidden_block_count_x
      - .offset:         36
        .size:           4
        .value_kind:     hidden_block_count_y
      - .offset:         40
        .size:           4
        .value_kind:     hidden_block_count_z
      - .offset:         44
        .size:           2
        .value_kind:     hidden_group_size_x
      - .offset:         46
        .size:           2
        .value_kind:     hidden_group_size_y
      - .offset:         48
        .size:           2
        .value_kind:     hidden_group_size_z
      - .offset:         50
        .size:           2
        .value_kind:     hidden_remainder_x
      - .offset:         52
        .size:           2
        .value_kind:     hidden_remainder_y
      - .offset:         54
        .size:           2
        .value_kind:     hidden_remainder_z
      - .offset:         72
        .size:           8
        .value_kind:     hidden_global_offset_x
      - .offset:         80
        .size:           8
        .value_kind:     hidden_global_offset_y
      - .offset:         88
        .size:           8
        .value_kind:     hidden_global_offset_z
      - .offset:         96
        .size:           2
        .value_kind:     hidden_grid_dims
    .group_segment_fixed_size: 0
    .kernarg_segment_align: 8
    .kernarg_segment_size: 288
    .language:       OpenCL C
    .language_version:
      - 2
      - 0
    .max_flat_workgroup_size: 256
    .name:           _Z6kernelI14exclusive_scanN6common11custom_typeIddLb0EEELj32ELj100EEvPKT0_PS4_S4_
    .private_segment_fixed_size: 0
    .sgpr_count:     18
    .sgpr_spill_count: 0
    .symbol:         _Z6kernelI14exclusive_scanN6common11custom_typeIddLb0EEELj32ELj100EEvPKT0_PS4_S4_.kd
    .uniform_work_group_size: 1
    .uses_dynamic_stack: false
    .vgpr_count:     11
    .vgpr_spill_count: 0
    .wavefront_size: 32
    .workgroup_processor_mode: 1
  - .args:
      - .address_space:  global
        .offset:         0
        .size:           8
        .value_kind:     global_buffer
      - .address_space:  global
        .offset:         8
        .size:           8
        .value_kind:     global_buffer
      - .offset:         16
        .size:           16
        .value_kind:     by_value
      - .offset:         32
        .size:           4
        .value_kind:     hidden_block_count_x
      - .offset:         36
        .size:           4
        .value_kind:     hidden_block_count_y
      - .offset:         40
        .size:           4
        .value_kind:     hidden_block_count_z
      - .offset:         44
        .size:           2
        .value_kind:     hidden_group_size_x
      - .offset:         46
        .size:           2
        .value_kind:     hidden_group_size_y
      - .offset:         48
        .size:           2
        .value_kind:     hidden_group_size_z
      - .offset:         50
        .size:           2
        .value_kind:     hidden_remainder_x
      - .offset:         52
        .size:           2
        .value_kind:     hidden_remainder_y
      - .offset:         54
        .size:           2
        .value_kind:     hidden_remainder_z
      - .offset:         72
        .size:           8
        .value_kind:     hidden_global_offset_x
      - .offset:         80
        .size:           8
        .value_kind:     hidden_global_offset_y
      - .offset:         88
        .size:           8
        .value_kind:     hidden_global_offset_z
      - .offset:         96
        .size:           2
        .value_kind:     hidden_grid_dims
    .group_segment_fixed_size: 0
    .kernarg_segment_align: 8
    .kernarg_segment_size: 288
    .language:       OpenCL C
    .language_version:
      - 2
      - 0
    .max_flat_workgroup_size: 256
    .name:           _Z6kernelI14exclusive_scanN6common11custom_typeIddLb0EEELj16ELj100EEvPKT0_PS4_S4_
    .private_segment_fixed_size: 0
    .sgpr_count:     18
    .sgpr_spill_count: 0
    .symbol:         _Z6kernelI14exclusive_scanN6common11custom_typeIddLb0EEELj16ELj100EEvPKT0_PS4_S4_.kd
    .uniform_work_group_size: 1
    .uses_dynamic_stack: false
    .vgpr_count:     11
    .vgpr_spill_count: 0
    .wavefront_size: 32
    .workgroup_processor_mode: 1
  - .args:
      - .address_space:  global
        .offset:         0
        .size:           8
        .value_kind:     global_buffer
      - .address_space:  global
        .offset:         8
        .size:           8
        .value_kind:     global_buffer
      - .offset:         16
        .size:           16
        .value_kind:     by_value
      - .offset:         32
        .size:           4
        .value_kind:     hidden_block_count_x
      - .offset:         36
        .size:           4
        .value_kind:     hidden_block_count_y
      - .offset:         40
        .size:           4
        .value_kind:     hidden_block_count_z
      - .offset:         44
        .size:           2
        .value_kind:     hidden_group_size_x
      - .offset:         46
        .size:           2
        .value_kind:     hidden_group_size_y
      - .offset:         48
        .size:           2
        .value_kind:     hidden_group_size_z
      - .offset:         50
        .size:           2
        .value_kind:     hidden_remainder_x
      - .offset:         52
        .size:           2
        .value_kind:     hidden_remainder_y
      - .offset:         54
        .size:           2
        .value_kind:     hidden_remainder_z
      - .offset:         72
        .size:           8
        .value_kind:     hidden_global_offset_x
      - .offset:         80
        .size:           8
        .value_kind:     hidden_global_offset_y
      - .offset:         88
        .size:           8
        .value_kind:     hidden_global_offset_z
      - .offset:         96
        .size:           2
        .value_kind:     hidden_grid_dims
    .group_segment_fixed_size: 0
    .kernarg_segment_align: 8
    .kernarg_segment_size: 288
    .language:       OpenCL C
    .language_version:
      - 2
      - 0
    .max_flat_workgroup_size: 256
    .name:           _Z6kernelI14exclusive_scanN6common11custom_typeIddLb0EEELj63ELj100EEvPKT0_PS4_S4_
    .private_segment_fixed_size: 0
    .sgpr_count:     18
    .sgpr_spill_count: 0
    .symbol:         _Z6kernelI14exclusive_scanN6common11custom_typeIddLb0EEELj63ELj100EEvPKT0_PS4_S4_.kd
    .uniform_work_group_size: 1
    .uses_dynamic_stack: false
    .vgpr_count:     6
    .vgpr_spill_count: 0
    .wavefront_size: 32
    .workgroup_processor_mode: 1
  - .args:
      - .address_space:  global
        .offset:         0
        .size:           8
        .value_kind:     global_buffer
      - .address_space:  global
        .offset:         8
        .size:           8
        .value_kind:     global_buffer
      - .offset:         16
        .size:           16
        .value_kind:     by_value
      - .offset:         32
        .size:           4
        .value_kind:     hidden_block_count_x
      - .offset:         36
        .size:           4
        .value_kind:     hidden_block_count_y
      - .offset:         40
        .size:           4
        .value_kind:     hidden_block_count_z
      - .offset:         44
        .size:           2
        .value_kind:     hidden_group_size_x
      - .offset:         46
        .size:           2
        .value_kind:     hidden_group_size_y
      - .offset:         48
        .size:           2
        .value_kind:     hidden_group_size_z
      - .offset:         50
        .size:           2
        .value_kind:     hidden_remainder_x
      - .offset:         52
        .size:           2
        .value_kind:     hidden_remainder_y
      - .offset:         54
        .size:           2
        .value_kind:     hidden_remainder_z
      - .offset:         72
        .size:           8
        .value_kind:     hidden_global_offset_x
      - .offset:         80
        .size:           8
        .value_kind:     hidden_global_offset_y
      - .offset:         88
        .size:           8
        .value_kind:     hidden_global_offset_z
      - .offset:         96
        .size:           2
        .value_kind:     hidden_grid_dims
    .group_segment_fixed_size: 496
    .kernarg_segment_align: 8
    .kernarg_segment_size: 288
    .language:       OpenCL C
    .language_version:
      - 2
      - 0
    .max_flat_workgroup_size: 256
    .name:           _Z6kernelI14exclusive_scanN6common11custom_typeIddLb0EEELj31ELj100EEvPKT0_PS4_S4_
    .private_segment_fixed_size: 0
    .sgpr_count:     18
    .sgpr_spill_count: 0
    .symbol:         _Z6kernelI14exclusive_scanN6common11custom_typeIddLb0EEELj31ELj100EEvPKT0_PS4_S4_.kd
    .uniform_work_group_size: 1
    .uses_dynamic_stack: false
    .vgpr_count:     16
    .vgpr_spill_count: 0
    .wavefront_size: 32
    .workgroup_processor_mode: 1
  - .args:
      - .address_space:  global
        .offset:         0
        .size:           8
        .value_kind:     global_buffer
      - .address_space:  global
        .offset:         8
        .size:           8
        .value_kind:     global_buffer
      - .offset:         16
        .size:           16
        .value_kind:     by_value
      - .offset:         32
        .size:           4
        .value_kind:     hidden_block_count_x
      - .offset:         36
        .size:           4
        .value_kind:     hidden_block_count_y
      - .offset:         40
        .size:           4
        .value_kind:     hidden_block_count_z
      - .offset:         44
        .size:           2
        .value_kind:     hidden_group_size_x
      - .offset:         46
        .size:           2
        .value_kind:     hidden_group_size_y
      - .offset:         48
        .size:           2
        .value_kind:     hidden_group_size_z
      - .offset:         50
        .size:           2
        .value_kind:     hidden_remainder_x
      - .offset:         52
        .size:           2
        .value_kind:     hidden_remainder_y
      - .offset:         54
        .size:           2
        .value_kind:     hidden_remainder_z
      - .offset:         72
        .size:           8
        .value_kind:     hidden_global_offset_x
      - .offset:         80
        .size:           8
        .value_kind:     hidden_global_offset_y
      - .offset:         88
        .size:           8
        .value_kind:     hidden_global_offset_z
      - .offset:         96
        .size:           2
        .value_kind:     hidden_grid_dims
    .group_segment_fixed_size: 240
    .kernarg_segment_align: 8
    .kernarg_segment_size: 288
    .language:       OpenCL C
    .language_version:
      - 2
      - 0
    .max_flat_workgroup_size: 256
    .name:           _Z6kernelI14exclusive_scanN6common11custom_typeIddLb0EEELj15ELj100EEvPKT0_PS4_S4_
    .private_segment_fixed_size: 0
    .sgpr_count:     18
    .sgpr_spill_count: 0
    .symbol:         _Z6kernelI14exclusive_scanN6common11custom_typeIddLb0EEELj15ELj100EEvPKT0_PS4_S4_.kd
    .uniform_work_group_size: 1
    .uses_dynamic_stack: false
    .vgpr_count:     15
    .vgpr_spill_count: 0
    .wavefront_size: 32
    .workgroup_processor_mode: 1
  - .args:
      - .address_space:  global
        .offset:         0
        .size:           8
        .value_kind:     global_buffer
      - .address_space:  global
        .offset:         8
        .size:           8
        .value_kind:     global_buffer
      - .offset:         16
        .size:           16
        .value_kind:     by_value
      - .offset:         32
        .size:           4
        .value_kind:     hidden_block_count_x
      - .offset:         36
        .size:           4
        .value_kind:     hidden_block_count_y
      - .offset:         40
        .size:           4
        .value_kind:     hidden_block_count_z
      - .offset:         44
        .size:           2
        .value_kind:     hidden_group_size_x
      - .offset:         46
        .size:           2
        .value_kind:     hidden_group_size_y
      - .offset:         48
        .size:           2
        .value_kind:     hidden_group_size_z
      - .offset:         50
        .size:           2
        .value_kind:     hidden_remainder_x
      - .offset:         52
        .size:           2
        .value_kind:     hidden_remainder_y
      - .offset:         54
        .size:           2
        .value_kind:     hidden_remainder_z
      - .offset:         72
        .size:           8
        .value_kind:     hidden_global_offset_x
      - .offset:         80
        .size:           8
        .value_kind:     hidden_global_offset_y
      - .offset:         88
        .size:           8
        .value_kind:     hidden_global_offset_z
      - .offset:         96
        .size:           2
        .value_kind:     hidden_grid_dims
    .group_segment_fixed_size: 0
    .kernarg_segment_align: 8
    .kernarg_segment_size: 288
    .language:       OpenCL C
    .language_version:
      - 2
      - 0
    .max_flat_workgroup_size: 256
    .name:           _Z6kernelI14exclusive_scanN6common11custom_typeIidLb0EEELj64ELj100EEvPKT0_PS4_S4_
    .private_segment_fixed_size: 0
    .sgpr_count:     18
    .sgpr_spill_count: 0
    .symbol:         _Z6kernelI14exclusive_scanN6common11custom_typeIidLb0EEELj64ELj100EEvPKT0_PS4_S4_.kd
    .uniform_work_group_size: 1
    .uses_dynamic_stack: false
    .vgpr_count:     5
    .vgpr_spill_count: 0
    .wavefront_size: 32
    .workgroup_processor_mode: 1
  - .args:
      - .address_space:  global
        .offset:         0
        .size:           8
        .value_kind:     global_buffer
      - .address_space:  global
        .offset:         8
        .size:           8
        .value_kind:     global_buffer
      - .offset:         16
        .size:           16
        .value_kind:     by_value
      - .offset:         32
        .size:           4
        .value_kind:     hidden_block_count_x
      - .offset:         36
        .size:           4
        .value_kind:     hidden_block_count_y
      - .offset:         40
        .size:           4
        .value_kind:     hidden_block_count_z
      - .offset:         44
        .size:           2
        .value_kind:     hidden_group_size_x
      - .offset:         46
        .size:           2
        .value_kind:     hidden_group_size_y
      - .offset:         48
        .size:           2
        .value_kind:     hidden_group_size_z
      - .offset:         50
        .size:           2
        .value_kind:     hidden_remainder_x
      - .offset:         52
        .size:           2
        .value_kind:     hidden_remainder_y
      - .offset:         54
        .size:           2
        .value_kind:     hidden_remainder_z
      - .offset:         72
        .size:           8
        .value_kind:     hidden_global_offset_x
      - .offset:         80
        .size:           8
        .value_kind:     hidden_global_offset_y
      - .offset:         88
        .size:           8
        .value_kind:     hidden_global_offset_z
      - .offset:         96
        .size:           2
        .value_kind:     hidden_grid_dims
    .group_segment_fixed_size: 0
    .kernarg_segment_align: 8
    .kernarg_segment_size: 288
    .language:       OpenCL C
    .language_version:
      - 2
      - 0
    .max_flat_workgroup_size: 256
    .name:           _Z6kernelI14exclusive_scanN6common11custom_typeIidLb0EEELj32ELj100EEvPKT0_PS4_S4_
    .private_segment_fixed_size: 0
    .sgpr_count:     18
    .sgpr_spill_count: 0
    .symbol:         _Z6kernelI14exclusive_scanN6common11custom_typeIidLb0EEELj32ELj100EEvPKT0_PS4_S4_.kd
    .uniform_work_group_size: 1
    .uses_dynamic_stack: false
    .vgpr_count:     9
    .vgpr_spill_count: 0
    .wavefront_size: 32
    .workgroup_processor_mode: 1
  - .args:
      - .address_space:  global
        .offset:         0
        .size:           8
        .value_kind:     global_buffer
      - .address_space:  global
        .offset:         8
        .size:           8
        .value_kind:     global_buffer
      - .offset:         16
        .size:           16
        .value_kind:     by_value
      - .offset:         32
        .size:           4
        .value_kind:     hidden_block_count_x
      - .offset:         36
        .size:           4
        .value_kind:     hidden_block_count_y
      - .offset:         40
        .size:           4
        .value_kind:     hidden_block_count_z
      - .offset:         44
        .size:           2
        .value_kind:     hidden_group_size_x
      - .offset:         46
        .size:           2
        .value_kind:     hidden_group_size_y
      - .offset:         48
        .size:           2
        .value_kind:     hidden_group_size_z
      - .offset:         50
        .size:           2
        .value_kind:     hidden_remainder_x
      - .offset:         52
        .size:           2
        .value_kind:     hidden_remainder_y
      - .offset:         54
        .size:           2
        .value_kind:     hidden_remainder_z
      - .offset:         72
        .size:           8
        .value_kind:     hidden_global_offset_x
      - .offset:         80
        .size:           8
        .value_kind:     hidden_global_offset_y
      - .offset:         88
        .size:           8
        .value_kind:     hidden_global_offset_z
      - .offset:         96
        .size:           2
        .value_kind:     hidden_grid_dims
    .group_segment_fixed_size: 0
    .kernarg_segment_align: 8
    .kernarg_segment_size: 288
    .language:       OpenCL C
    .language_version:
      - 2
      - 0
    .max_flat_workgroup_size: 256
    .name:           _Z6kernelI14exclusive_scanN6common11custom_typeIidLb0EEELj16ELj100EEvPKT0_PS4_S4_
    .private_segment_fixed_size: 0
    .sgpr_count:     18
    .sgpr_spill_count: 0
    .symbol:         _Z6kernelI14exclusive_scanN6common11custom_typeIidLb0EEELj16ELj100EEvPKT0_PS4_S4_.kd
    .uniform_work_group_size: 1
    .uses_dynamic_stack: false
    .vgpr_count:     9
    .vgpr_spill_count: 0
    .wavefront_size: 32
    .workgroup_processor_mode: 1
  - .args:
      - .address_space:  global
        .offset:         0
        .size:           8
        .value_kind:     global_buffer
      - .address_space:  global
        .offset:         8
        .size:           8
        .value_kind:     global_buffer
      - .offset:         16
        .size:           16
        .value_kind:     by_value
      - .offset:         32
        .size:           4
        .value_kind:     hidden_block_count_x
      - .offset:         36
        .size:           4
        .value_kind:     hidden_block_count_y
      - .offset:         40
        .size:           4
        .value_kind:     hidden_block_count_z
      - .offset:         44
        .size:           2
        .value_kind:     hidden_group_size_x
      - .offset:         46
        .size:           2
        .value_kind:     hidden_group_size_y
      - .offset:         48
        .size:           2
        .value_kind:     hidden_group_size_z
      - .offset:         50
        .size:           2
        .value_kind:     hidden_remainder_x
      - .offset:         52
        .size:           2
        .value_kind:     hidden_remainder_y
      - .offset:         54
        .size:           2
        .value_kind:     hidden_remainder_z
      - .offset:         72
        .size:           8
        .value_kind:     hidden_global_offset_x
      - .offset:         80
        .size:           8
        .value_kind:     hidden_global_offset_y
      - .offset:         88
        .size:           8
        .value_kind:     hidden_global_offset_z
      - .offset:         96
        .size:           2
        .value_kind:     hidden_grid_dims
    .group_segment_fixed_size: 0
    .kernarg_segment_align: 8
    .kernarg_segment_size: 288
    .language:       OpenCL C
    .language_version:
      - 2
      - 0
    .max_flat_workgroup_size: 256
    .name:           _Z6kernelI14exclusive_scanN6common11custom_typeIidLb0EEELj63ELj100EEvPKT0_PS4_S4_
    .private_segment_fixed_size: 0
    .sgpr_count:     18
    .sgpr_spill_count: 0
    .symbol:         _Z6kernelI14exclusive_scanN6common11custom_typeIidLb0EEELj63ELj100EEvPKT0_PS4_S4_.kd
    .uniform_work_group_size: 1
    .uses_dynamic_stack: false
    .vgpr_count:     5
    .vgpr_spill_count: 0
    .wavefront_size: 32
    .workgroup_processor_mode: 1
  - .args:
      - .address_space:  global
        .offset:         0
        .size:           8
        .value_kind:     global_buffer
      - .address_space:  global
        .offset:         8
        .size:           8
        .value_kind:     global_buffer
      - .offset:         16
        .size:           16
        .value_kind:     by_value
      - .offset:         32
        .size:           4
        .value_kind:     hidden_block_count_x
      - .offset:         36
        .size:           4
        .value_kind:     hidden_block_count_y
      - .offset:         40
        .size:           4
        .value_kind:     hidden_block_count_z
      - .offset:         44
        .size:           2
        .value_kind:     hidden_group_size_x
      - .offset:         46
        .size:           2
        .value_kind:     hidden_group_size_y
      - .offset:         48
        .size:           2
        .value_kind:     hidden_group_size_z
      - .offset:         50
        .size:           2
        .value_kind:     hidden_remainder_x
      - .offset:         52
        .size:           2
        .value_kind:     hidden_remainder_y
      - .offset:         54
        .size:           2
        .value_kind:     hidden_remainder_z
      - .offset:         72
        .size:           8
        .value_kind:     hidden_global_offset_x
      - .offset:         80
        .size:           8
        .value_kind:     hidden_global_offset_y
      - .offset:         88
        .size:           8
        .value_kind:     hidden_global_offset_z
      - .offset:         96
        .size:           2
        .value_kind:     hidden_grid_dims
    .group_segment_fixed_size: 496
    .kernarg_segment_align: 8
    .kernarg_segment_size: 288
    .language:       OpenCL C
    .language_version:
      - 2
      - 0
    .max_flat_workgroup_size: 256
    .name:           _Z6kernelI14exclusive_scanN6common11custom_typeIidLb0EEELj31ELj100EEvPKT0_PS4_S4_
    .private_segment_fixed_size: 0
    .sgpr_count:     18
    .sgpr_spill_count: 0
    .symbol:         _Z6kernelI14exclusive_scanN6common11custom_typeIidLb0EEELj31ELj100EEvPKT0_PS4_S4_.kd
    .uniform_work_group_size: 1
    .uses_dynamic_stack: false
    .vgpr_count:     13
    .vgpr_spill_count: 0
    .wavefront_size: 32
    .workgroup_processor_mode: 1
  - .args:
      - .address_space:  global
        .offset:         0
        .size:           8
        .value_kind:     global_buffer
      - .address_space:  global
        .offset:         8
        .size:           8
        .value_kind:     global_buffer
      - .offset:         16
        .size:           16
        .value_kind:     by_value
      - .offset:         32
        .size:           4
        .value_kind:     hidden_block_count_x
      - .offset:         36
        .size:           4
        .value_kind:     hidden_block_count_y
      - .offset:         40
        .size:           4
        .value_kind:     hidden_block_count_z
      - .offset:         44
        .size:           2
        .value_kind:     hidden_group_size_x
      - .offset:         46
        .size:           2
        .value_kind:     hidden_group_size_y
      - .offset:         48
        .size:           2
        .value_kind:     hidden_group_size_z
      - .offset:         50
        .size:           2
        .value_kind:     hidden_remainder_x
      - .offset:         52
        .size:           2
        .value_kind:     hidden_remainder_y
      - .offset:         54
        .size:           2
        .value_kind:     hidden_remainder_z
      - .offset:         72
        .size:           8
        .value_kind:     hidden_global_offset_x
      - .offset:         80
        .size:           8
        .value_kind:     hidden_global_offset_y
      - .offset:         88
        .size:           8
        .value_kind:     hidden_global_offset_z
      - .offset:         96
        .size:           2
        .value_kind:     hidden_grid_dims
    .group_segment_fixed_size: 240
    .kernarg_segment_align: 8
    .kernarg_segment_size: 288
    .language:       OpenCL C
    .language_version:
      - 2
      - 0
    .max_flat_workgroup_size: 256
    .name:           _Z6kernelI14exclusive_scanN6common11custom_typeIidLb0EEELj15ELj100EEvPKT0_PS4_S4_
    .private_segment_fixed_size: 0
    .sgpr_count:     18
    .sgpr_spill_count: 0
    .symbol:         _Z6kernelI14exclusive_scanN6common11custom_typeIidLb0EEELj15ELj100EEvPKT0_PS4_S4_.kd
    .uniform_work_group_size: 1
    .uses_dynamic_stack: false
    .vgpr_count:     12
    .vgpr_spill_count: 0
    .wavefront_size: 32
    .workgroup_processor_mode: 1
  - .args:
      - .address_space:  global
        .offset:         0
        .size:           8
        .value_kind:     global_buffer
      - .address_space:  global
        .offset:         8
        .size:           8
        .value_kind:     global_buffer
      - .offset:         16
        .size:           16
        .value_kind:     by_value
      - .offset:         32
        .size:           4
        .value_kind:     hidden_block_count_x
      - .offset:         36
        .size:           4
        .value_kind:     hidden_block_count_y
      - .offset:         40
        .size:           4
        .value_kind:     hidden_block_count_z
      - .offset:         44
        .size:           2
        .value_kind:     hidden_group_size_x
      - .offset:         46
        .size:           2
        .value_kind:     hidden_group_size_y
      - .offset:         48
        .size:           2
        .value_kind:     hidden_group_size_z
      - .offset:         50
        .size:           2
        .value_kind:     hidden_remainder_x
      - .offset:         52
        .size:           2
        .value_kind:     hidden_remainder_y
      - .offset:         54
        .size:           2
        .value_kind:     hidden_remainder_z
      - .offset:         72
        .size:           8
        .value_kind:     hidden_global_offset_x
      - .offset:         80
        .size:           8
        .value_kind:     hidden_global_offset_y
      - .offset:         88
        .size:           8
        .value_kind:     hidden_global_offset_z
      - .offset:         96
        .size:           2
        .value_kind:     hidden_grid_dims
    .group_segment_fixed_size: 0
    .kernarg_segment_align: 8
    .kernarg_segment_size: 288
    .language:       OpenCL C
    .language_version:
      - 2
      - 0
    .max_flat_workgroup_size: 256
    .name:           _Z6kernelI14exclusive_scannLj64ELj100EEvPKT0_PS1_S1_
    .private_segment_fixed_size: 0
    .sgpr_count:     18
    .sgpr_spill_count: 0
    .symbol:         _Z6kernelI14exclusive_scannLj64ELj100EEvPKT0_PS1_S1_.kd
    .uniform_work_group_size: 1
    .uses_dynamic_stack: false
    .vgpr_count:     6
    .vgpr_spill_count: 0
    .wavefront_size: 32
    .workgroup_processor_mode: 1
  - .args:
      - .address_space:  global
        .offset:         0
        .size:           8
        .value_kind:     global_buffer
      - .address_space:  global
        .offset:         8
        .size:           8
        .value_kind:     global_buffer
      - .offset:         16
        .size:           16
        .value_kind:     by_value
      - .offset:         32
        .size:           4
        .value_kind:     hidden_block_count_x
      - .offset:         36
        .size:           4
        .value_kind:     hidden_block_count_y
      - .offset:         40
        .size:           4
        .value_kind:     hidden_block_count_z
      - .offset:         44
        .size:           2
        .value_kind:     hidden_group_size_x
      - .offset:         46
        .size:           2
        .value_kind:     hidden_group_size_y
      - .offset:         48
        .size:           2
        .value_kind:     hidden_group_size_z
      - .offset:         50
        .size:           2
        .value_kind:     hidden_remainder_x
      - .offset:         52
        .size:           2
        .value_kind:     hidden_remainder_y
      - .offset:         54
        .size:           2
        .value_kind:     hidden_remainder_z
      - .offset:         72
        .size:           8
        .value_kind:     hidden_global_offset_x
      - .offset:         80
        .size:           8
        .value_kind:     hidden_global_offset_y
      - .offset:         88
        .size:           8
        .value_kind:     hidden_global_offset_z
      - .offset:         96
        .size:           2
        .value_kind:     hidden_grid_dims
    .group_segment_fixed_size: 0
    .kernarg_segment_align: 8
    .kernarg_segment_size: 288
    .language:       OpenCL C
    .language_version:
      - 2
      - 0
    .max_flat_workgroup_size: 256
    .name:           _Z6kernelI14exclusive_scannLj32ELj100EEvPKT0_PS1_S1_
    .private_segment_fixed_size: 0
    .sgpr_count:     18
    .sgpr_spill_count: 0
    .symbol:         _Z6kernelI14exclusive_scannLj32ELj100EEvPKT0_PS1_S1_.kd
    .uniform_work_group_size: 1
    .uses_dynamic_stack: false
    .vgpr_count:     13
    .vgpr_spill_count: 0
    .wavefront_size: 32
    .workgroup_processor_mode: 1
  - .args:
      - .address_space:  global
        .offset:         0
        .size:           8
        .value_kind:     global_buffer
      - .address_space:  global
        .offset:         8
        .size:           8
        .value_kind:     global_buffer
      - .offset:         16
        .size:           16
        .value_kind:     by_value
      - .offset:         32
        .size:           4
        .value_kind:     hidden_block_count_x
      - .offset:         36
        .size:           4
        .value_kind:     hidden_block_count_y
      - .offset:         40
        .size:           4
        .value_kind:     hidden_block_count_z
      - .offset:         44
        .size:           2
        .value_kind:     hidden_group_size_x
      - .offset:         46
        .size:           2
        .value_kind:     hidden_group_size_y
      - .offset:         48
        .size:           2
        .value_kind:     hidden_group_size_z
      - .offset:         50
        .size:           2
        .value_kind:     hidden_remainder_x
      - .offset:         52
        .size:           2
        .value_kind:     hidden_remainder_y
      - .offset:         54
        .size:           2
        .value_kind:     hidden_remainder_z
      - .offset:         72
        .size:           8
        .value_kind:     hidden_global_offset_x
      - .offset:         80
        .size:           8
        .value_kind:     hidden_global_offset_y
      - .offset:         88
        .size:           8
        .value_kind:     hidden_global_offset_z
      - .offset:         96
        .size:           2
        .value_kind:     hidden_grid_dims
    .group_segment_fixed_size: 0
    .kernarg_segment_align: 8
    .kernarg_segment_size: 288
    .language:       OpenCL C
    .language_version:
      - 2
      - 0
    .max_flat_workgroup_size: 256
    .name:           _Z6kernelI14exclusive_scannLj16ELj100EEvPKT0_PS1_S1_
    .private_segment_fixed_size: 0
    .sgpr_count:     18
    .sgpr_spill_count: 0
    .symbol:         _Z6kernelI14exclusive_scannLj16ELj100EEvPKT0_PS1_S1_.kd
    .uniform_work_group_size: 1
    .uses_dynamic_stack: false
    .vgpr_count:     13
    .vgpr_spill_count: 0
    .wavefront_size: 32
    .workgroup_processor_mode: 1
  - .args:
      - .address_space:  global
        .offset:         0
        .size:           8
        .value_kind:     global_buffer
      - .address_space:  global
        .offset:         8
        .size:           8
        .value_kind:     global_buffer
      - .offset:         16
        .size:           16
        .value_kind:     by_value
      - .offset:         32
        .size:           4
        .value_kind:     hidden_block_count_x
      - .offset:         36
        .size:           4
        .value_kind:     hidden_block_count_y
      - .offset:         40
        .size:           4
        .value_kind:     hidden_block_count_z
      - .offset:         44
        .size:           2
        .value_kind:     hidden_group_size_x
      - .offset:         46
        .size:           2
        .value_kind:     hidden_group_size_y
      - .offset:         48
        .size:           2
        .value_kind:     hidden_group_size_z
      - .offset:         50
        .size:           2
        .value_kind:     hidden_remainder_x
      - .offset:         52
        .size:           2
        .value_kind:     hidden_remainder_y
      - .offset:         54
        .size:           2
        .value_kind:     hidden_remainder_z
      - .offset:         72
        .size:           8
        .value_kind:     hidden_global_offset_x
      - .offset:         80
        .size:           8
        .value_kind:     hidden_global_offset_y
      - .offset:         88
        .size:           8
        .value_kind:     hidden_global_offset_z
      - .offset:         96
        .size:           2
        .value_kind:     hidden_grid_dims
    .group_segment_fixed_size: 0
    .kernarg_segment_align: 8
    .kernarg_segment_size: 288
    .language:       OpenCL C
    .language_version:
      - 2
      - 0
    .max_flat_workgroup_size: 256
    .name:           _Z6kernelI14exclusive_scannLj63ELj100EEvPKT0_PS1_S1_
    .private_segment_fixed_size: 0
    .sgpr_count:     18
    .sgpr_spill_count: 0
    .symbol:         _Z6kernelI14exclusive_scannLj63ELj100EEvPKT0_PS1_S1_.kd
    .uniform_work_group_size: 1
    .uses_dynamic_stack: false
    .vgpr_count:     6
    .vgpr_spill_count: 0
    .wavefront_size: 32
    .workgroup_processor_mode: 1
  - .args:
      - .address_space:  global
        .offset:         0
        .size:           8
        .value_kind:     global_buffer
      - .address_space:  global
        .offset:         8
        .size:           8
        .value_kind:     global_buffer
      - .offset:         16
        .size:           16
        .value_kind:     by_value
      - .offset:         32
        .size:           4
        .value_kind:     hidden_block_count_x
      - .offset:         36
        .size:           4
        .value_kind:     hidden_block_count_y
      - .offset:         40
        .size:           4
        .value_kind:     hidden_block_count_z
      - .offset:         44
        .size:           2
        .value_kind:     hidden_group_size_x
      - .offset:         46
        .size:           2
        .value_kind:     hidden_group_size_y
      - .offset:         48
        .size:           2
        .value_kind:     hidden_group_size_z
      - .offset:         50
        .size:           2
        .value_kind:     hidden_remainder_x
      - .offset:         52
        .size:           2
        .value_kind:     hidden_remainder_y
      - .offset:         54
        .size:           2
        .value_kind:     hidden_remainder_z
      - .offset:         72
        .size:           8
        .value_kind:     hidden_global_offset_x
      - .offset:         80
        .size:           8
        .value_kind:     hidden_global_offset_y
      - .offset:         88
        .size:           8
        .value_kind:     hidden_global_offset_z
      - .offset:         96
        .size:           2
        .value_kind:     hidden_grid_dims
    .group_segment_fixed_size: 496
    .kernarg_segment_align: 8
    .kernarg_segment_size: 288
    .language:       OpenCL C
    .language_version:
      - 2
      - 0
    .max_flat_workgroup_size: 256
    .name:           _Z6kernelI14exclusive_scannLj31ELj100EEvPKT0_PS1_S1_
    .private_segment_fixed_size: 0
    .sgpr_count:     18
    .sgpr_spill_count: 0
    .symbol:         _Z6kernelI14exclusive_scannLj31ELj100EEvPKT0_PS1_S1_.kd
    .uniform_work_group_size: 1
    .uses_dynamic_stack: false
    .vgpr_count:     16
    .vgpr_spill_count: 0
    .wavefront_size: 32
    .workgroup_processor_mode: 1
  - .args:
      - .address_space:  global
        .offset:         0
        .size:           8
        .value_kind:     global_buffer
      - .address_space:  global
        .offset:         8
        .size:           8
        .value_kind:     global_buffer
      - .offset:         16
        .size:           16
        .value_kind:     by_value
      - .offset:         32
        .size:           4
        .value_kind:     hidden_block_count_x
      - .offset:         36
        .size:           4
        .value_kind:     hidden_block_count_y
      - .offset:         40
        .size:           4
        .value_kind:     hidden_block_count_z
      - .offset:         44
        .size:           2
        .value_kind:     hidden_group_size_x
      - .offset:         46
        .size:           2
        .value_kind:     hidden_group_size_y
      - .offset:         48
        .size:           2
        .value_kind:     hidden_group_size_z
      - .offset:         50
        .size:           2
        .value_kind:     hidden_remainder_x
      - .offset:         52
        .size:           2
        .value_kind:     hidden_remainder_y
      - .offset:         54
        .size:           2
        .value_kind:     hidden_remainder_z
      - .offset:         72
        .size:           8
        .value_kind:     hidden_global_offset_x
      - .offset:         80
        .size:           8
        .value_kind:     hidden_global_offset_y
      - .offset:         88
        .size:           8
        .value_kind:     hidden_global_offset_z
      - .offset:         96
        .size:           2
        .value_kind:     hidden_grid_dims
    .group_segment_fixed_size: 240
    .kernarg_segment_align: 8
    .kernarg_segment_size: 288
    .language:       OpenCL C
    .language_version:
      - 2
      - 0
    .max_flat_workgroup_size: 256
    .name:           _Z6kernelI14exclusive_scannLj15ELj100EEvPKT0_PS1_S1_
    .private_segment_fixed_size: 0
    .sgpr_count:     18
    .sgpr_spill_count: 0
    .symbol:         _Z6kernelI14exclusive_scannLj15ELj100EEvPKT0_PS1_S1_.kd
    .uniform_work_group_size: 1
    .uses_dynamic_stack: false
    .vgpr_count:     15
    .vgpr_spill_count: 0
    .wavefront_size: 32
    .workgroup_processor_mode: 1
  - .args:
      - .address_space:  global
        .offset:         0
        .size:           8
        .value_kind:     global_buffer
      - .address_space:  global
        .offset:         8
        .size:           8
        .value_kind:     global_buffer
      - .offset:         16
        .size:           16
        .value_kind:     by_value
      - .offset:         32
        .size:           4
        .value_kind:     hidden_block_count_x
      - .offset:         36
        .size:           4
        .value_kind:     hidden_block_count_y
      - .offset:         40
        .size:           4
        .value_kind:     hidden_block_count_z
      - .offset:         44
        .size:           2
        .value_kind:     hidden_group_size_x
      - .offset:         46
        .size:           2
        .value_kind:     hidden_group_size_y
      - .offset:         48
        .size:           2
        .value_kind:     hidden_group_size_z
      - .offset:         50
        .size:           2
        .value_kind:     hidden_remainder_x
      - .offset:         52
        .size:           2
        .value_kind:     hidden_remainder_y
      - .offset:         54
        .size:           2
        .value_kind:     hidden_remainder_z
      - .offset:         72
        .size:           8
        .value_kind:     hidden_global_offset_x
      - .offset:         80
        .size:           8
        .value_kind:     hidden_global_offset_y
      - .offset:         88
        .size:           8
        .value_kind:     hidden_global_offset_z
      - .offset:         96
        .size:           2
        .value_kind:     hidden_grid_dims
    .group_segment_fixed_size: 0
    .kernarg_segment_align: 8
    .kernarg_segment_size: 288
    .language:       OpenCL C
    .language_version:
      - 2
      - 0
    .max_flat_workgroup_size: 256
    .name:           _Z6kernelI14exclusive_scanoLj64ELj100EEvPKT0_PS1_S1_
    .private_segment_fixed_size: 0
    .sgpr_count:     18
    .sgpr_spill_count: 0
    .symbol:         _Z6kernelI14exclusive_scanoLj64ELj100EEvPKT0_PS1_S1_.kd
    .uniform_work_group_size: 1
    .uses_dynamic_stack: false
    .vgpr_count:     6
    .vgpr_spill_count: 0
    .wavefront_size: 32
    .workgroup_processor_mode: 1
  - .args:
      - .address_space:  global
        .offset:         0
        .size:           8
        .value_kind:     global_buffer
      - .address_space:  global
        .offset:         8
        .size:           8
        .value_kind:     global_buffer
      - .offset:         16
        .size:           16
        .value_kind:     by_value
      - .offset:         32
        .size:           4
        .value_kind:     hidden_block_count_x
      - .offset:         36
        .size:           4
        .value_kind:     hidden_block_count_y
      - .offset:         40
        .size:           4
        .value_kind:     hidden_block_count_z
      - .offset:         44
        .size:           2
        .value_kind:     hidden_group_size_x
      - .offset:         46
        .size:           2
        .value_kind:     hidden_group_size_y
      - .offset:         48
        .size:           2
        .value_kind:     hidden_group_size_z
      - .offset:         50
        .size:           2
        .value_kind:     hidden_remainder_x
      - .offset:         52
        .size:           2
        .value_kind:     hidden_remainder_y
      - .offset:         54
        .size:           2
        .value_kind:     hidden_remainder_z
      - .offset:         72
        .size:           8
        .value_kind:     hidden_global_offset_x
      - .offset:         80
        .size:           8
        .value_kind:     hidden_global_offset_y
      - .offset:         88
        .size:           8
        .value_kind:     hidden_global_offset_z
      - .offset:         96
        .size:           2
        .value_kind:     hidden_grid_dims
    .group_segment_fixed_size: 0
    .kernarg_segment_align: 8
    .kernarg_segment_size: 288
    .language:       OpenCL C
    .language_version:
      - 2
      - 0
    .max_flat_workgroup_size: 256
    .name:           _Z6kernelI14exclusive_scanoLj32ELj100EEvPKT0_PS1_S1_
    .private_segment_fixed_size: 0
    .sgpr_count:     18
    .sgpr_spill_count: 0
    .symbol:         _Z6kernelI14exclusive_scanoLj32ELj100EEvPKT0_PS1_S1_.kd
    .uniform_work_group_size: 1
    .uses_dynamic_stack: false
    .vgpr_count:     13
    .vgpr_spill_count: 0
    .wavefront_size: 32
    .workgroup_processor_mode: 1
  - .args:
      - .address_space:  global
        .offset:         0
        .size:           8
        .value_kind:     global_buffer
      - .address_space:  global
        .offset:         8
        .size:           8
        .value_kind:     global_buffer
      - .offset:         16
        .size:           16
        .value_kind:     by_value
      - .offset:         32
        .size:           4
        .value_kind:     hidden_block_count_x
      - .offset:         36
        .size:           4
        .value_kind:     hidden_block_count_y
      - .offset:         40
        .size:           4
        .value_kind:     hidden_block_count_z
      - .offset:         44
        .size:           2
        .value_kind:     hidden_group_size_x
      - .offset:         46
        .size:           2
        .value_kind:     hidden_group_size_y
      - .offset:         48
        .size:           2
        .value_kind:     hidden_group_size_z
      - .offset:         50
        .size:           2
        .value_kind:     hidden_remainder_x
      - .offset:         52
        .size:           2
        .value_kind:     hidden_remainder_y
      - .offset:         54
        .size:           2
        .value_kind:     hidden_remainder_z
      - .offset:         72
        .size:           8
        .value_kind:     hidden_global_offset_x
      - .offset:         80
        .size:           8
        .value_kind:     hidden_global_offset_y
      - .offset:         88
        .size:           8
        .value_kind:     hidden_global_offset_z
      - .offset:         96
        .size:           2
        .value_kind:     hidden_grid_dims
    .group_segment_fixed_size: 0
    .kernarg_segment_align: 8
    .kernarg_segment_size: 288
    .language:       OpenCL C
    .language_version:
      - 2
      - 0
    .max_flat_workgroup_size: 256
    .name:           _Z6kernelI14exclusive_scanoLj16ELj100EEvPKT0_PS1_S1_
    .private_segment_fixed_size: 0
    .sgpr_count:     18
    .sgpr_spill_count: 0
    .symbol:         _Z6kernelI14exclusive_scanoLj16ELj100EEvPKT0_PS1_S1_.kd
    .uniform_work_group_size: 1
    .uses_dynamic_stack: false
    .vgpr_count:     13
    .vgpr_spill_count: 0
    .wavefront_size: 32
    .workgroup_processor_mode: 1
  - .args:
      - .address_space:  global
        .offset:         0
        .size:           8
        .value_kind:     global_buffer
      - .address_space:  global
        .offset:         8
        .size:           8
        .value_kind:     global_buffer
      - .offset:         16
        .size:           16
        .value_kind:     by_value
      - .offset:         32
        .size:           4
        .value_kind:     hidden_block_count_x
      - .offset:         36
        .size:           4
        .value_kind:     hidden_block_count_y
      - .offset:         40
        .size:           4
        .value_kind:     hidden_block_count_z
      - .offset:         44
        .size:           2
        .value_kind:     hidden_group_size_x
      - .offset:         46
        .size:           2
        .value_kind:     hidden_group_size_y
      - .offset:         48
        .size:           2
        .value_kind:     hidden_group_size_z
      - .offset:         50
        .size:           2
        .value_kind:     hidden_remainder_x
      - .offset:         52
        .size:           2
        .value_kind:     hidden_remainder_y
      - .offset:         54
        .size:           2
        .value_kind:     hidden_remainder_z
      - .offset:         72
        .size:           8
        .value_kind:     hidden_global_offset_x
      - .offset:         80
        .size:           8
        .value_kind:     hidden_global_offset_y
      - .offset:         88
        .size:           8
        .value_kind:     hidden_global_offset_z
      - .offset:         96
        .size:           2
        .value_kind:     hidden_grid_dims
    .group_segment_fixed_size: 0
    .kernarg_segment_align: 8
    .kernarg_segment_size: 288
    .language:       OpenCL C
    .language_version:
      - 2
      - 0
    .max_flat_workgroup_size: 256
    .name:           _Z6kernelI14exclusive_scanoLj63ELj100EEvPKT0_PS1_S1_
    .private_segment_fixed_size: 0
    .sgpr_count:     18
    .sgpr_spill_count: 0
    .symbol:         _Z6kernelI14exclusive_scanoLj63ELj100EEvPKT0_PS1_S1_.kd
    .uniform_work_group_size: 1
    .uses_dynamic_stack: false
    .vgpr_count:     6
    .vgpr_spill_count: 0
    .wavefront_size: 32
    .workgroup_processor_mode: 1
  - .args:
      - .address_space:  global
        .offset:         0
        .size:           8
        .value_kind:     global_buffer
      - .address_space:  global
        .offset:         8
        .size:           8
        .value_kind:     global_buffer
      - .offset:         16
        .size:           16
        .value_kind:     by_value
      - .offset:         32
        .size:           4
        .value_kind:     hidden_block_count_x
      - .offset:         36
        .size:           4
        .value_kind:     hidden_block_count_y
      - .offset:         40
        .size:           4
        .value_kind:     hidden_block_count_z
      - .offset:         44
        .size:           2
        .value_kind:     hidden_group_size_x
      - .offset:         46
        .size:           2
        .value_kind:     hidden_group_size_y
      - .offset:         48
        .size:           2
        .value_kind:     hidden_group_size_z
      - .offset:         50
        .size:           2
        .value_kind:     hidden_remainder_x
      - .offset:         52
        .size:           2
        .value_kind:     hidden_remainder_y
      - .offset:         54
        .size:           2
        .value_kind:     hidden_remainder_z
      - .offset:         72
        .size:           8
        .value_kind:     hidden_global_offset_x
      - .offset:         80
        .size:           8
        .value_kind:     hidden_global_offset_y
      - .offset:         88
        .size:           8
        .value_kind:     hidden_global_offset_z
      - .offset:         96
        .size:           2
        .value_kind:     hidden_grid_dims
    .group_segment_fixed_size: 496
    .kernarg_segment_align: 8
    .kernarg_segment_size: 288
    .language:       OpenCL C
    .language_version:
      - 2
      - 0
    .max_flat_workgroup_size: 256
    .name:           _Z6kernelI14exclusive_scanoLj31ELj100EEvPKT0_PS1_S1_
    .private_segment_fixed_size: 0
    .sgpr_count:     18
    .sgpr_spill_count: 0
    .symbol:         _Z6kernelI14exclusive_scanoLj31ELj100EEvPKT0_PS1_S1_.kd
    .uniform_work_group_size: 1
    .uses_dynamic_stack: false
    .vgpr_count:     16
    .vgpr_spill_count: 0
    .wavefront_size: 32
    .workgroup_processor_mode: 1
  - .args:
      - .address_space:  global
        .offset:         0
        .size:           8
        .value_kind:     global_buffer
      - .address_space:  global
        .offset:         8
        .size:           8
        .value_kind:     global_buffer
      - .offset:         16
        .size:           16
        .value_kind:     by_value
      - .offset:         32
        .size:           4
        .value_kind:     hidden_block_count_x
      - .offset:         36
        .size:           4
        .value_kind:     hidden_block_count_y
      - .offset:         40
        .size:           4
        .value_kind:     hidden_block_count_z
      - .offset:         44
        .size:           2
        .value_kind:     hidden_group_size_x
      - .offset:         46
        .size:           2
        .value_kind:     hidden_group_size_y
      - .offset:         48
        .size:           2
        .value_kind:     hidden_group_size_z
      - .offset:         50
        .size:           2
        .value_kind:     hidden_remainder_x
      - .offset:         52
        .size:           2
        .value_kind:     hidden_remainder_y
      - .offset:         54
        .size:           2
        .value_kind:     hidden_remainder_z
      - .offset:         72
        .size:           8
        .value_kind:     hidden_global_offset_x
      - .offset:         80
        .size:           8
        .value_kind:     hidden_global_offset_y
      - .offset:         88
        .size:           8
        .value_kind:     hidden_global_offset_z
      - .offset:         96
        .size:           2
        .value_kind:     hidden_grid_dims
    .group_segment_fixed_size: 240
    .kernarg_segment_align: 8
    .kernarg_segment_size: 288
    .language:       OpenCL C
    .language_version:
      - 2
      - 0
    .max_flat_workgroup_size: 256
    .name:           _Z6kernelI14exclusive_scanoLj15ELj100EEvPKT0_PS1_S1_
    .private_segment_fixed_size: 0
    .sgpr_count:     18
    .sgpr_spill_count: 0
    .symbol:         _Z6kernelI14exclusive_scanoLj15ELj100EEvPKT0_PS1_S1_.kd
    .uniform_work_group_size: 1
    .uses_dynamic_stack: false
    .vgpr_count:     15
    .vgpr_spill_count: 0
    .wavefront_size: 32
    .workgroup_processor_mode: 1
  - .args:
      - .address_space:  global
        .offset:         0
        .size:           8
        .value_kind:     global_buffer
      - .address_space:  global
        .offset:         8
        .size:           8
        .value_kind:     global_buffer
      - .offset:         16
        .size:           4
        .value_kind:     by_value
      - .offset:         24
        .size:           4
        .value_kind:     hidden_block_count_x
      - .offset:         28
        .size:           4
        .value_kind:     hidden_block_count_y
      - .offset:         32
        .size:           4
        .value_kind:     hidden_block_count_z
      - .offset:         36
        .size:           2
        .value_kind:     hidden_group_size_x
      - .offset:         38
        .size:           2
        .value_kind:     hidden_group_size_y
      - .offset:         40
        .size:           2
        .value_kind:     hidden_group_size_z
      - .offset:         42
        .size:           2
        .value_kind:     hidden_remainder_x
      - .offset:         44
        .size:           2
        .value_kind:     hidden_remainder_y
      - .offset:         46
        .size:           2
        .value_kind:     hidden_remainder_z
      - .offset:         64
        .size:           8
        .value_kind:     hidden_global_offset_x
      - .offset:         72
        .size:           8
        .value_kind:     hidden_global_offset_y
      - .offset:         80
        .size:           8
        .value_kind:     hidden_global_offset_z
      - .offset:         88
        .size:           2
        .value_kind:     hidden_grid_dims
    .group_segment_fixed_size: 0
    .kernarg_segment_align: 8
    .kernarg_segment_size: 280
    .language:       OpenCL C
    .language_version:
      - 2
      - 0
    .max_flat_workgroup_size: 256
    .name:           _Z6kernelI9broadcastiLj64ELj100EEvPKT0_PS1_S1_
    .private_segment_fixed_size: 0
    .sgpr_count:     18
    .sgpr_spill_count: 0
    .symbol:         _Z6kernelI9broadcastiLj64ELj100EEvPKT0_PS1_S1_.kd
    .uniform_work_group_size: 1
    .uses_dynamic_stack: false
    .vgpr_count:     3
    .vgpr_spill_count: 0
    .wavefront_size: 32
    .workgroup_processor_mode: 1
  - .args:
      - .address_space:  global
        .offset:         0
        .size:           8
        .value_kind:     global_buffer
      - .address_space:  global
        .offset:         8
        .size:           8
        .value_kind:     global_buffer
      - .offset:         16
        .size:           4
        .value_kind:     by_value
      - .offset:         24
        .size:           4
        .value_kind:     hidden_block_count_x
      - .offset:         28
        .size:           4
        .value_kind:     hidden_block_count_y
      - .offset:         32
        .size:           4
        .value_kind:     hidden_block_count_z
      - .offset:         36
        .size:           2
        .value_kind:     hidden_group_size_x
      - .offset:         38
        .size:           2
        .value_kind:     hidden_group_size_y
      - .offset:         40
        .size:           2
        .value_kind:     hidden_group_size_z
      - .offset:         42
        .size:           2
        .value_kind:     hidden_remainder_x
      - .offset:         44
        .size:           2
        .value_kind:     hidden_remainder_y
      - .offset:         46
        .size:           2
        .value_kind:     hidden_remainder_z
      - .offset:         64
        .size:           8
        .value_kind:     hidden_global_offset_x
      - .offset:         72
        .size:           8
        .value_kind:     hidden_global_offset_y
      - .offset:         80
        .size:           8
        .value_kind:     hidden_global_offset_z
      - .offset:         88
        .size:           2
        .value_kind:     hidden_grid_dims
    .group_segment_fixed_size: 0
    .kernarg_segment_align: 8
    .kernarg_segment_size: 280
    .language:       OpenCL C
    .language_version:
      - 2
      - 0
    .max_flat_workgroup_size: 256
    .name:           _Z6kernelI9broadcastiLj32ELj100EEvPKT0_PS1_S1_
    .private_segment_fixed_size: 0
    .sgpr_count:     18
    .sgpr_spill_count: 0
    .symbol:         _Z6kernelI9broadcastiLj32ELj100EEvPKT0_PS1_S1_.kd
    .uniform_work_group_size: 1
    .uses_dynamic_stack: false
    .vgpr_count:     5
    .vgpr_spill_count: 0
    .wavefront_size: 32
    .workgroup_processor_mode: 1
  - .args:
      - .address_space:  global
        .offset:         0
        .size:           8
        .value_kind:     global_buffer
      - .address_space:  global
        .offset:         8
        .size:           8
        .value_kind:     global_buffer
      - .offset:         16
        .size:           4
        .value_kind:     by_value
      - .offset:         24
        .size:           4
        .value_kind:     hidden_block_count_x
      - .offset:         28
        .size:           4
        .value_kind:     hidden_block_count_y
      - .offset:         32
        .size:           4
        .value_kind:     hidden_block_count_z
      - .offset:         36
        .size:           2
        .value_kind:     hidden_group_size_x
      - .offset:         38
        .size:           2
        .value_kind:     hidden_group_size_y
      - .offset:         40
        .size:           2
        .value_kind:     hidden_group_size_z
      - .offset:         42
        .size:           2
        .value_kind:     hidden_remainder_x
      - .offset:         44
        .size:           2
        .value_kind:     hidden_remainder_y
      - .offset:         46
        .size:           2
        .value_kind:     hidden_remainder_z
      - .offset:         64
        .size:           8
        .value_kind:     hidden_global_offset_x
      - .offset:         72
        .size:           8
        .value_kind:     hidden_global_offset_y
      - .offset:         80
        .size:           8
        .value_kind:     hidden_global_offset_z
      - .offset:         88
        .size:           2
        .value_kind:     hidden_grid_dims
    .group_segment_fixed_size: 0
    .kernarg_segment_align: 8
    .kernarg_segment_size: 280
    .language:       OpenCL C
    .language_version:
      - 2
      - 0
    .max_flat_workgroup_size: 256
    .name:           _Z6kernelI9broadcastiLj16ELj100EEvPKT0_PS1_S1_
    .private_segment_fixed_size: 0
    .sgpr_count:     18
    .sgpr_spill_count: 0
    .symbol:         _Z6kernelI9broadcastiLj16ELj100EEvPKT0_PS1_S1_.kd
    .uniform_work_group_size: 1
    .uses_dynamic_stack: false
    .vgpr_count:     6
    .vgpr_spill_count: 0
    .wavefront_size: 32
    .workgroup_processor_mode: 1
  - .args:
      - .address_space:  global
        .offset:         0
        .size:           8
        .value_kind:     global_buffer
      - .address_space:  global
        .offset:         8
        .size:           8
        .value_kind:     global_buffer
      - .offset:         16
        .size:           4
        .value_kind:     by_value
      - .offset:         24
        .size:           4
        .value_kind:     hidden_block_count_x
      - .offset:         28
        .size:           4
        .value_kind:     hidden_block_count_y
      - .offset:         32
        .size:           4
        .value_kind:     hidden_block_count_z
      - .offset:         36
        .size:           2
        .value_kind:     hidden_group_size_x
      - .offset:         38
        .size:           2
        .value_kind:     hidden_group_size_y
      - .offset:         40
        .size:           2
        .value_kind:     hidden_group_size_z
      - .offset:         42
        .size:           2
        .value_kind:     hidden_remainder_x
      - .offset:         44
        .size:           2
        .value_kind:     hidden_remainder_y
      - .offset:         46
        .size:           2
        .value_kind:     hidden_remainder_z
      - .offset:         64
        .size:           8
        .value_kind:     hidden_global_offset_x
      - .offset:         72
        .size:           8
        .value_kind:     hidden_global_offset_y
      - .offset:         80
        .size:           8
        .value_kind:     hidden_global_offset_z
      - .offset:         88
        .size:           2
        .value_kind:     hidden_grid_dims
    .group_segment_fixed_size: 0
    .kernarg_segment_align: 8
    .kernarg_segment_size: 280
    .language:       OpenCL C
    .language_version:
      - 2
      - 0
    .max_flat_workgroup_size: 256
    .name:           _Z6kernelI9broadcastfLj64ELj100EEvPKT0_PS1_S1_
    .private_segment_fixed_size: 0
    .sgpr_count:     18
    .sgpr_spill_count: 0
    .symbol:         _Z6kernelI9broadcastfLj64ELj100EEvPKT0_PS1_S1_.kd
    .uniform_work_group_size: 1
    .uses_dynamic_stack: false
    .vgpr_count:     4
    .vgpr_spill_count: 0
    .wavefront_size: 32
    .workgroup_processor_mode: 1
  - .args:
      - .address_space:  global
        .offset:         0
        .size:           8
        .value_kind:     global_buffer
      - .address_space:  global
        .offset:         8
        .size:           8
        .value_kind:     global_buffer
      - .offset:         16
        .size:           4
        .value_kind:     by_value
      - .offset:         24
        .size:           4
        .value_kind:     hidden_block_count_x
      - .offset:         28
        .size:           4
        .value_kind:     hidden_block_count_y
      - .offset:         32
        .size:           4
        .value_kind:     hidden_block_count_z
      - .offset:         36
        .size:           2
        .value_kind:     hidden_group_size_x
      - .offset:         38
        .size:           2
        .value_kind:     hidden_group_size_y
      - .offset:         40
        .size:           2
        .value_kind:     hidden_group_size_z
      - .offset:         42
        .size:           2
        .value_kind:     hidden_remainder_x
      - .offset:         44
        .size:           2
        .value_kind:     hidden_remainder_y
      - .offset:         46
        .size:           2
        .value_kind:     hidden_remainder_z
      - .offset:         64
        .size:           8
        .value_kind:     hidden_global_offset_x
      - .offset:         72
        .size:           8
        .value_kind:     hidden_global_offset_y
      - .offset:         80
        .size:           8
        .value_kind:     hidden_global_offset_z
      - .offset:         88
        .size:           2
        .value_kind:     hidden_grid_dims
    .group_segment_fixed_size: 0
    .kernarg_segment_align: 8
    .kernarg_segment_size: 280
    .language:       OpenCL C
    .language_version:
      - 2
      - 0
    .max_flat_workgroup_size: 256
    .name:           _Z6kernelI9broadcastfLj32ELj100EEvPKT0_PS1_S1_
    .private_segment_fixed_size: 0
    .sgpr_count:     18
    .sgpr_spill_count: 0
    .symbol:         _Z6kernelI9broadcastfLj32ELj100EEvPKT0_PS1_S1_.kd
    .uniform_work_group_size: 1
    .uses_dynamic_stack: false
    .vgpr_count:     5
    .vgpr_spill_count: 0
    .wavefront_size: 32
    .workgroup_processor_mode: 1
  - .args:
      - .address_space:  global
        .offset:         0
        .size:           8
        .value_kind:     global_buffer
      - .address_space:  global
        .offset:         8
        .size:           8
        .value_kind:     global_buffer
      - .offset:         16
        .size:           4
        .value_kind:     by_value
      - .offset:         24
        .size:           4
        .value_kind:     hidden_block_count_x
      - .offset:         28
        .size:           4
        .value_kind:     hidden_block_count_y
      - .offset:         32
        .size:           4
        .value_kind:     hidden_block_count_z
      - .offset:         36
        .size:           2
        .value_kind:     hidden_group_size_x
      - .offset:         38
        .size:           2
        .value_kind:     hidden_group_size_y
      - .offset:         40
        .size:           2
        .value_kind:     hidden_group_size_z
      - .offset:         42
        .size:           2
        .value_kind:     hidden_remainder_x
      - .offset:         44
        .size:           2
        .value_kind:     hidden_remainder_y
      - .offset:         46
        .size:           2
        .value_kind:     hidden_remainder_z
      - .offset:         64
        .size:           8
        .value_kind:     hidden_global_offset_x
      - .offset:         72
        .size:           8
        .value_kind:     hidden_global_offset_y
      - .offset:         80
        .size:           8
        .value_kind:     hidden_global_offset_z
      - .offset:         88
        .size:           2
        .value_kind:     hidden_grid_dims
    .group_segment_fixed_size: 0
    .kernarg_segment_align: 8
    .kernarg_segment_size: 280
    .language:       OpenCL C
    .language_version:
      - 2
      - 0
    .max_flat_workgroup_size: 256
    .name:           _Z6kernelI9broadcastfLj16ELj100EEvPKT0_PS1_S1_
    .private_segment_fixed_size: 0
    .sgpr_count:     18
    .sgpr_spill_count: 0
    .symbol:         _Z6kernelI9broadcastfLj16ELj100EEvPKT0_PS1_S1_.kd
    .uniform_work_group_size: 1
    .uses_dynamic_stack: false
    .vgpr_count:     6
    .vgpr_spill_count: 0
    .wavefront_size: 32
    .workgroup_processor_mode: 1
  - .args:
      - .address_space:  global
        .offset:         0
        .size:           8
        .value_kind:     global_buffer
      - .address_space:  global
        .offset:         8
        .size:           8
        .value_kind:     global_buffer
      - .offset:         16
        .size:           8
        .value_kind:     by_value
      - .offset:         24
        .size:           4
        .value_kind:     hidden_block_count_x
      - .offset:         28
        .size:           4
        .value_kind:     hidden_block_count_y
      - .offset:         32
        .size:           4
        .value_kind:     hidden_block_count_z
      - .offset:         36
        .size:           2
        .value_kind:     hidden_group_size_x
      - .offset:         38
        .size:           2
        .value_kind:     hidden_group_size_y
      - .offset:         40
        .size:           2
        .value_kind:     hidden_group_size_z
      - .offset:         42
        .size:           2
        .value_kind:     hidden_remainder_x
      - .offset:         44
        .size:           2
        .value_kind:     hidden_remainder_y
      - .offset:         46
        .size:           2
        .value_kind:     hidden_remainder_z
      - .offset:         64
        .size:           8
        .value_kind:     hidden_global_offset_x
      - .offset:         72
        .size:           8
        .value_kind:     hidden_global_offset_y
      - .offset:         80
        .size:           8
        .value_kind:     hidden_global_offset_z
      - .offset:         88
        .size:           2
        .value_kind:     hidden_grid_dims
    .group_segment_fixed_size: 0
    .kernarg_segment_align: 8
    .kernarg_segment_size: 280
    .language:       OpenCL C
    .language_version:
      - 2
      - 0
    .max_flat_workgroup_size: 256
    .name:           _Z6kernelI9broadcastdLj64ELj100EEvPKT0_PS1_S1_
    .private_segment_fixed_size: 0
    .sgpr_count:     18
    .sgpr_spill_count: 0
    .symbol:         _Z6kernelI9broadcastdLj64ELj100EEvPKT0_PS1_S1_.kd
    .uniform_work_group_size: 1
    .uses_dynamic_stack: false
    .vgpr_count:     6
    .vgpr_spill_count: 0
    .wavefront_size: 32
    .workgroup_processor_mode: 1
  - .args:
      - .address_space:  global
        .offset:         0
        .size:           8
        .value_kind:     global_buffer
      - .address_space:  global
        .offset:         8
        .size:           8
        .value_kind:     global_buffer
      - .offset:         16
        .size:           8
        .value_kind:     by_value
      - .offset:         24
        .size:           4
        .value_kind:     hidden_block_count_x
      - .offset:         28
        .size:           4
        .value_kind:     hidden_block_count_y
      - .offset:         32
        .size:           4
        .value_kind:     hidden_block_count_z
      - .offset:         36
        .size:           2
        .value_kind:     hidden_group_size_x
      - .offset:         38
        .size:           2
        .value_kind:     hidden_group_size_y
      - .offset:         40
        .size:           2
        .value_kind:     hidden_group_size_z
      - .offset:         42
        .size:           2
        .value_kind:     hidden_remainder_x
      - .offset:         44
        .size:           2
        .value_kind:     hidden_remainder_y
      - .offset:         46
        .size:           2
        .value_kind:     hidden_remainder_z
      - .offset:         64
        .size:           8
        .value_kind:     hidden_global_offset_x
      - .offset:         72
        .size:           8
        .value_kind:     hidden_global_offset_y
      - .offset:         80
        .size:           8
        .value_kind:     hidden_global_offset_z
      - .offset:         88
        .size:           2
        .value_kind:     hidden_grid_dims
    .group_segment_fixed_size: 0
    .kernarg_segment_align: 8
    .kernarg_segment_size: 280
    .language:       OpenCL C
    .language_version:
      - 2
      - 0
    .max_flat_workgroup_size: 256
    .name:           _Z6kernelI9broadcastdLj32ELj100EEvPKT0_PS1_S1_
    .private_segment_fixed_size: 0
    .sgpr_count:     18
    .sgpr_spill_count: 0
    .symbol:         _Z6kernelI9broadcastdLj32ELj100EEvPKT0_PS1_S1_.kd
    .uniform_work_group_size: 1
    .uses_dynamic_stack: false
    .vgpr_count:     6
    .vgpr_spill_count: 0
    .wavefront_size: 32
    .workgroup_processor_mode: 1
  - .args:
      - .address_space:  global
        .offset:         0
        .size:           8
        .value_kind:     global_buffer
      - .address_space:  global
        .offset:         8
        .size:           8
        .value_kind:     global_buffer
      - .offset:         16
        .size:           8
        .value_kind:     by_value
      - .offset:         24
        .size:           4
        .value_kind:     hidden_block_count_x
      - .offset:         28
        .size:           4
        .value_kind:     hidden_block_count_y
      - .offset:         32
        .size:           4
        .value_kind:     hidden_block_count_z
      - .offset:         36
        .size:           2
        .value_kind:     hidden_group_size_x
      - .offset:         38
        .size:           2
        .value_kind:     hidden_group_size_y
      - .offset:         40
        .size:           2
        .value_kind:     hidden_group_size_z
      - .offset:         42
        .size:           2
        .value_kind:     hidden_remainder_x
      - .offset:         44
        .size:           2
        .value_kind:     hidden_remainder_y
      - .offset:         46
        .size:           2
        .value_kind:     hidden_remainder_z
      - .offset:         64
        .size:           8
        .value_kind:     hidden_global_offset_x
      - .offset:         72
        .size:           8
        .value_kind:     hidden_global_offset_y
      - .offset:         80
        .size:           8
        .value_kind:     hidden_global_offset_z
      - .offset:         88
        .size:           2
        .value_kind:     hidden_grid_dims
    .group_segment_fixed_size: 0
    .kernarg_segment_align: 8
    .kernarg_segment_size: 280
    .language:       OpenCL C
    .language_version:
      - 2
      - 0
    .max_flat_workgroup_size: 256
    .name:           _Z6kernelI9broadcastdLj16ELj100EEvPKT0_PS1_S1_
    .private_segment_fixed_size: 0
    .sgpr_count:     18
    .sgpr_spill_count: 0
    .symbol:         _Z6kernelI9broadcastdLj16ELj100EEvPKT0_PS1_S1_.kd
    .uniform_work_group_size: 1
    .uses_dynamic_stack: false
    .vgpr_count:     6
    .vgpr_spill_count: 0
    .wavefront_size: 32
    .workgroup_processor_mode: 1
  - .args:
      - .address_space:  global
        .offset:         0
        .size:           8
        .value_kind:     global_buffer
      - .address_space:  global
        .offset:         8
        .size:           8
        .value_kind:     global_buffer
      - .offset:         16
        .size:           1
        .value_kind:     by_value
      - .offset:         24
        .size:           4
        .value_kind:     hidden_block_count_x
      - .offset:         28
        .size:           4
        .value_kind:     hidden_block_count_y
      - .offset:         32
        .size:           4
        .value_kind:     hidden_block_count_z
      - .offset:         36
        .size:           2
        .value_kind:     hidden_group_size_x
      - .offset:         38
        .size:           2
        .value_kind:     hidden_group_size_y
      - .offset:         40
        .size:           2
        .value_kind:     hidden_group_size_z
      - .offset:         42
        .size:           2
        .value_kind:     hidden_remainder_x
      - .offset:         44
        .size:           2
        .value_kind:     hidden_remainder_y
      - .offset:         46
        .size:           2
        .value_kind:     hidden_remainder_z
      - .offset:         64
        .size:           8
        .value_kind:     hidden_global_offset_x
      - .offset:         72
        .size:           8
        .value_kind:     hidden_global_offset_y
      - .offset:         80
        .size:           8
        .value_kind:     hidden_global_offset_z
      - .offset:         88
        .size:           2
        .value_kind:     hidden_grid_dims
    .group_segment_fixed_size: 0
    .kernarg_segment_align: 8
    .kernarg_segment_size: 280
    .language:       OpenCL C
    .language_version:
      - 2
      - 0
    .max_flat_workgroup_size: 256
    .name:           _Z6kernelI9broadcastaLj64ELj100EEvPKT0_PS1_S1_
    .private_segment_fixed_size: 0
    .sgpr_count:     16
    .sgpr_spill_count: 0
    .symbol:         _Z6kernelI9broadcastaLj64ELj100EEvPKT0_PS1_S1_.kd
    .uniform_work_group_size: 1
    .uses_dynamic_stack: false
    .vgpr_count:     3
    .vgpr_spill_count: 0
    .wavefront_size: 32
    .workgroup_processor_mode: 1
  - .args:
      - .address_space:  global
        .offset:         0
        .size:           8
        .value_kind:     global_buffer
      - .address_space:  global
        .offset:         8
        .size:           8
        .value_kind:     global_buffer
      - .offset:         16
        .size:           1
        .value_kind:     by_value
      - .offset:         24
        .size:           4
        .value_kind:     hidden_block_count_x
      - .offset:         28
        .size:           4
        .value_kind:     hidden_block_count_y
      - .offset:         32
        .size:           4
        .value_kind:     hidden_block_count_z
      - .offset:         36
        .size:           2
        .value_kind:     hidden_group_size_x
      - .offset:         38
        .size:           2
        .value_kind:     hidden_group_size_y
      - .offset:         40
        .size:           2
        .value_kind:     hidden_group_size_z
      - .offset:         42
        .size:           2
        .value_kind:     hidden_remainder_x
      - .offset:         44
        .size:           2
        .value_kind:     hidden_remainder_y
      - .offset:         46
        .size:           2
        .value_kind:     hidden_remainder_z
      - .offset:         64
        .size:           8
        .value_kind:     hidden_global_offset_x
      - .offset:         72
        .size:           8
        .value_kind:     hidden_global_offset_y
      - .offset:         80
        .size:           8
        .value_kind:     hidden_global_offset_z
      - .offset:         88
        .size:           2
        .value_kind:     hidden_grid_dims
    .group_segment_fixed_size: 0
    .kernarg_segment_align: 8
    .kernarg_segment_size: 280
    .language:       OpenCL C
    .language_version:
      - 2
      - 0
    .max_flat_workgroup_size: 256
    .name:           _Z6kernelI9broadcastaLj32ELj100EEvPKT0_PS1_S1_
    .private_segment_fixed_size: 0
    .sgpr_count:     16
    .sgpr_spill_count: 0
    .symbol:         _Z6kernelI9broadcastaLj32ELj100EEvPKT0_PS1_S1_.kd
    .uniform_work_group_size: 1
    .uses_dynamic_stack: false
    .vgpr_count:     3
    .vgpr_spill_count: 0
    .wavefront_size: 32
    .workgroup_processor_mode: 1
  - .args:
      - .address_space:  global
        .offset:         0
        .size:           8
        .value_kind:     global_buffer
      - .address_space:  global
        .offset:         8
        .size:           8
        .value_kind:     global_buffer
      - .offset:         16
        .size:           1
        .value_kind:     by_value
      - .offset:         24
        .size:           4
        .value_kind:     hidden_block_count_x
      - .offset:         28
        .size:           4
        .value_kind:     hidden_block_count_y
      - .offset:         32
        .size:           4
        .value_kind:     hidden_block_count_z
      - .offset:         36
        .size:           2
        .value_kind:     hidden_group_size_x
      - .offset:         38
        .size:           2
        .value_kind:     hidden_group_size_y
      - .offset:         40
        .size:           2
        .value_kind:     hidden_group_size_z
      - .offset:         42
        .size:           2
        .value_kind:     hidden_remainder_x
      - .offset:         44
        .size:           2
        .value_kind:     hidden_remainder_y
      - .offset:         46
        .size:           2
        .value_kind:     hidden_remainder_z
      - .offset:         64
        .size:           8
        .value_kind:     hidden_global_offset_x
      - .offset:         72
        .size:           8
        .value_kind:     hidden_global_offset_y
      - .offset:         80
        .size:           8
        .value_kind:     hidden_global_offset_z
      - .offset:         88
        .size:           2
        .value_kind:     hidden_grid_dims
    .group_segment_fixed_size: 0
    .kernarg_segment_align: 8
    .kernarg_segment_size: 280
    .language:       OpenCL C
    .language_version:
      - 2
      - 0
    .max_flat_workgroup_size: 256
    .name:           _Z6kernelI9broadcastaLj16ELj100EEvPKT0_PS1_S1_
    .private_segment_fixed_size: 0
    .sgpr_count:     16
    .sgpr_spill_count: 0
    .symbol:         _Z6kernelI9broadcastaLj16ELj100EEvPKT0_PS1_S1_.kd
    .uniform_work_group_size: 1
    .uses_dynamic_stack: false
    .vgpr_count:     4
    .vgpr_spill_count: 0
    .wavefront_size: 32
    .workgroup_processor_mode: 1
  - .args:
      - .address_space:  global
        .offset:         0
        .size:           8
        .value_kind:     global_buffer
      - .address_space:  global
        .offset:         8
        .size:           8
        .value_kind:     global_buffer
      - .offset:         16
        .size:           1
        .value_kind:     by_value
      - .offset:         24
        .size:           4
        .value_kind:     hidden_block_count_x
      - .offset:         28
        .size:           4
        .value_kind:     hidden_block_count_y
      - .offset:         32
        .size:           4
        .value_kind:     hidden_block_count_z
      - .offset:         36
        .size:           2
        .value_kind:     hidden_group_size_x
      - .offset:         38
        .size:           2
        .value_kind:     hidden_group_size_y
      - .offset:         40
        .size:           2
        .value_kind:     hidden_group_size_z
      - .offset:         42
        .size:           2
        .value_kind:     hidden_remainder_x
      - .offset:         44
        .size:           2
        .value_kind:     hidden_remainder_y
      - .offset:         46
        .size:           2
        .value_kind:     hidden_remainder_z
      - .offset:         64
        .size:           8
        .value_kind:     hidden_global_offset_x
      - .offset:         72
        .size:           8
        .value_kind:     hidden_global_offset_y
      - .offset:         80
        .size:           8
        .value_kind:     hidden_global_offset_z
      - .offset:         88
        .size:           2
        .value_kind:     hidden_grid_dims
    .group_segment_fixed_size: 0
    .kernarg_segment_align: 8
    .kernarg_segment_size: 280
    .language:       OpenCL C
    .language_version:
      - 2
      - 0
    .max_flat_workgroup_size: 256
    .name:           _Z6kernelI9broadcasthLj64ELj100EEvPKT0_PS1_S1_
    .private_segment_fixed_size: 0
    .sgpr_count:     16
    .sgpr_spill_count: 0
    .symbol:         _Z6kernelI9broadcasthLj64ELj100EEvPKT0_PS1_S1_.kd
    .uniform_work_group_size: 1
    .uses_dynamic_stack: false
    .vgpr_count:     3
    .vgpr_spill_count: 0
    .wavefront_size: 32
    .workgroup_processor_mode: 1
  - .args:
      - .address_space:  global
        .offset:         0
        .size:           8
        .value_kind:     global_buffer
      - .address_space:  global
        .offset:         8
        .size:           8
        .value_kind:     global_buffer
      - .offset:         16
        .size:           1
        .value_kind:     by_value
      - .offset:         24
        .size:           4
        .value_kind:     hidden_block_count_x
      - .offset:         28
        .size:           4
        .value_kind:     hidden_block_count_y
      - .offset:         32
        .size:           4
        .value_kind:     hidden_block_count_z
      - .offset:         36
        .size:           2
        .value_kind:     hidden_group_size_x
      - .offset:         38
        .size:           2
        .value_kind:     hidden_group_size_y
      - .offset:         40
        .size:           2
        .value_kind:     hidden_group_size_z
      - .offset:         42
        .size:           2
        .value_kind:     hidden_remainder_x
      - .offset:         44
        .size:           2
        .value_kind:     hidden_remainder_y
      - .offset:         46
        .size:           2
        .value_kind:     hidden_remainder_z
      - .offset:         64
        .size:           8
        .value_kind:     hidden_global_offset_x
      - .offset:         72
        .size:           8
        .value_kind:     hidden_global_offset_y
      - .offset:         80
        .size:           8
        .value_kind:     hidden_global_offset_z
      - .offset:         88
        .size:           2
        .value_kind:     hidden_grid_dims
    .group_segment_fixed_size: 0
    .kernarg_segment_align: 8
    .kernarg_segment_size: 280
    .language:       OpenCL C
    .language_version:
      - 2
      - 0
    .max_flat_workgroup_size: 256
    .name:           _Z6kernelI9broadcasthLj32ELj100EEvPKT0_PS1_S1_
    .private_segment_fixed_size: 0
    .sgpr_count:     16
    .sgpr_spill_count: 0
    .symbol:         _Z6kernelI9broadcasthLj32ELj100EEvPKT0_PS1_S1_.kd
    .uniform_work_group_size: 1
    .uses_dynamic_stack: false
    .vgpr_count:     3
    .vgpr_spill_count: 0
    .wavefront_size: 32
    .workgroup_processor_mode: 1
  - .args:
      - .address_space:  global
        .offset:         0
        .size:           8
        .value_kind:     global_buffer
      - .address_space:  global
        .offset:         8
        .size:           8
        .value_kind:     global_buffer
      - .offset:         16
        .size:           1
        .value_kind:     by_value
      - .offset:         24
        .size:           4
        .value_kind:     hidden_block_count_x
      - .offset:         28
        .size:           4
        .value_kind:     hidden_block_count_y
      - .offset:         32
        .size:           4
        .value_kind:     hidden_block_count_z
      - .offset:         36
        .size:           2
        .value_kind:     hidden_group_size_x
      - .offset:         38
        .size:           2
        .value_kind:     hidden_group_size_y
      - .offset:         40
        .size:           2
        .value_kind:     hidden_group_size_z
      - .offset:         42
        .size:           2
        .value_kind:     hidden_remainder_x
      - .offset:         44
        .size:           2
        .value_kind:     hidden_remainder_y
      - .offset:         46
        .size:           2
        .value_kind:     hidden_remainder_z
      - .offset:         64
        .size:           8
        .value_kind:     hidden_global_offset_x
      - .offset:         72
        .size:           8
        .value_kind:     hidden_global_offset_y
      - .offset:         80
        .size:           8
        .value_kind:     hidden_global_offset_z
      - .offset:         88
        .size:           2
        .value_kind:     hidden_grid_dims
    .group_segment_fixed_size: 0
    .kernarg_segment_align: 8
    .kernarg_segment_size: 280
    .language:       OpenCL C
    .language_version:
      - 2
      - 0
    .max_flat_workgroup_size: 256
    .name:           _Z6kernelI9broadcasthLj16ELj100EEvPKT0_PS1_S1_
    .private_segment_fixed_size: 0
    .sgpr_count:     16
    .sgpr_spill_count: 0
    .symbol:         _Z6kernelI9broadcasthLj16ELj100EEvPKT0_PS1_S1_.kd
    .uniform_work_group_size: 1
    .uses_dynamic_stack: false
    .vgpr_count:     4
    .vgpr_spill_count: 0
    .wavefront_size: 32
    .workgroup_processor_mode: 1
  - .args:
      - .address_space:  global
        .offset:         0
        .size:           8
        .value_kind:     global_buffer
      - .address_space:  global
        .offset:         8
        .size:           8
        .value_kind:     global_buffer
      - .offset:         16
        .size:           2
        .value_kind:     by_value
      - .offset:         24
        .size:           4
        .value_kind:     hidden_block_count_x
      - .offset:         28
        .size:           4
        .value_kind:     hidden_block_count_y
      - .offset:         32
        .size:           4
        .value_kind:     hidden_block_count_z
      - .offset:         36
        .size:           2
        .value_kind:     hidden_group_size_x
      - .offset:         38
        .size:           2
        .value_kind:     hidden_group_size_y
      - .offset:         40
        .size:           2
        .value_kind:     hidden_group_size_z
      - .offset:         42
        .size:           2
        .value_kind:     hidden_remainder_x
      - .offset:         44
        .size:           2
        .value_kind:     hidden_remainder_y
      - .offset:         46
        .size:           2
        .value_kind:     hidden_remainder_z
      - .offset:         64
        .size:           8
        .value_kind:     hidden_global_offset_x
      - .offset:         72
        .size:           8
        .value_kind:     hidden_global_offset_y
      - .offset:         80
        .size:           8
        .value_kind:     hidden_global_offset_z
      - .offset:         88
        .size:           2
        .value_kind:     hidden_grid_dims
    .group_segment_fixed_size: 0
    .kernarg_segment_align: 8
    .kernarg_segment_size: 280
    .language:       OpenCL C
    .language_version:
      - 2
      - 0
    .max_flat_workgroup_size: 256
    .name:           _Z6kernelI9broadcast6__halfLj64ELj100EEvPKT0_PS2_S2_
    .private_segment_fixed_size: 0
    .sgpr_count:     18
    .sgpr_spill_count: 0
    .symbol:         _Z6kernelI9broadcast6__halfLj64ELj100EEvPKT0_PS2_S2_.kd
    .uniform_work_group_size: 1
    .uses_dynamic_stack: false
    .vgpr_count:     3
    .vgpr_spill_count: 0
    .wavefront_size: 32
    .workgroup_processor_mode: 1
  - .args:
      - .address_space:  global
        .offset:         0
        .size:           8
        .value_kind:     global_buffer
      - .address_space:  global
        .offset:         8
        .size:           8
        .value_kind:     global_buffer
      - .offset:         16
        .size:           2
        .value_kind:     by_value
      - .offset:         24
        .size:           4
        .value_kind:     hidden_block_count_x
      - .offset:         28
        .size:           4
        .value_kind:     hidden_block_count_y
      - .offset:         32
        .size:           4
        .value_kind:     hidden_block_count_z
      - .offset:         36
        .size:           2
        .value_kind:     hidden_group_size_x
      - .offset:         38
        .size:           2
        .value_kind:     hidden_group_size_y
      - .offset:         40
        .size:           2
        .value_kind:     hidden_group_size_z
      - .offset:         42
        .size:           2
        .value_kind:     hidden_remainder_x
      - .offset:         44
        .size:           2
        .value_kind:     hidden_remainder_y
      - .offset:         46
        .size:           2
        .value_kind:     hidden_remainder_z
      - .offset:         64
        .size:           8
        .value_kind:     hidden_global_offset_x
      - .offset:         72
        .size:           8
        .value_kind:     hidden_global_offset_y
      - .offset:         80
        .size:           8
        .value_kind:     hidden_global_offset_z
      - .offset:         88
        .size:           2
        .value_kind:     hidden_grid_dims
    .group_segment_fixed_size: 0
    .kernarg_segment_align: 8
    .kernarg_segment_size: 280
    .language:       OpenCL C
    .language_version:
      - 2
      - 0
    .max_flat_workgroup_size: 256
    .name:           _Z6kernelI9broadcast6__halfLj32ELj100EEvPKT0_PS2_S2_
    .private_segment_fixed_size: 0
    .sgpr_count:     18
    .sgpr_spill_count: 0
    .symbol:         _Z6kernelI9broadcast6__halfLj32ELj100EEvPKT0_PS2_S2_.kd
    .uniform_work_group_size: 1
    .uses_dynamic_stack: false
    .vgpr_count:     5
    .vgpr_spill_count: 0
    .wavefront_size: 32
    .workgroup_processor_mode: 1
  - .args:
      - .address_space:  global
        .offset:         0
        .size:           8
        .value_kind:     global_buffer
      - .address_space:  global
        .offset:         8
        .size:           8
        .value_kind:     global_buffer
      - .offset:         16
        .size:           2
        .value_kind:     by_value
      - .offset:         24
        .size:           4
        .value_kind:     hidden_block_count_x
      - .offset:         28
        .size:           4
        .value_kind:     hidden_block_count_y
      - .offset:         32
        .size:           4
        .value_kind:     hidden_block_count_z
      - .offset:         36
        .size:           2
        .value_kind:     hidden_group_size_x
      - .offset:         38
        .size:           2
        .value_kind:     hidden_group_size_y
      - .offset:         40
        .size:           2
        .value_kind:     hidden_group_size_z
      - .offset:         42
        .size:           2
        .value_kind:     hidden_remainder_x
      - .offset:         44
        .size:           2
        .value_kind:     hidden_remainder_y
      - .offset:         46
        .size:           2
        .value_kind:     hidden_remainder_z
      - .offset:         64
        .size:           8
        .value_kind:     hidden_global_offset_x
      - .offset:         72
        .size:           8
        .value_kind:     hidden_global_offset_y
      - .offset:         80
        .size:           8
        .value_kind:     hidden_global_offset_z
      - .offset:         88
        .size:           2
        .value_kind:     hidden_grid_dims
    .group_segment_fixed_size: 0
    .kernarg_segment_align: 8
    .kernarg_segment_size: 280
    .language:       OpenCL C
    .language_version:
      - 2
      - 0
    .max_flat_workgroup_size: 256
    .name:           _Z6kernelI9broadcast6__halfLj16ELj100EEvPKT0_PS2_S2_
    .private_segment_fixed_size: 0
    .sgpr_count:     18
    .sgpr_spill_count: 0
    .symbol:         _Z6kernelI9broadcast6__halfLj16ELj100EEvPKT0_PS2_S2_.kd
    .uniform_work_group_size: 1
    .uses_dynamic_stack: false
    .vgpr_count:     6
    .vgpr_spill_count: 0
    .wavefront_size: 32
    .workgroup_processor_mode: 1
  - .args:
      - .address_space:  global
        .offset:         0
        .size:           8
        .value_kind:     global_buffer
      - .address_space:  global
        .offset:         8
        .size:           8
        .value_kind:     global_buffer
      - .offset:         16
        .size:           16
        .value_kind:     by_value
      - .offset:         32
        .size:           4
        .value_kind:     hidden_block_count_x
      - .offset:         36
        .size:           4
        .value_kind:     hidden_block_count_y
      - .offset:         40
        .size:           4
        .value_kind:     hidden_block_count_z
      - .offset:         44
        .size:           2
        .value_kind:     hidden_group_size_x
      - .offset:         46
        .size:           2
        .value_kind:     hidden_group_size_y
      - .offset:         48
        .size:           2
        .value_kind:     hidden_group_size_z
      - .offset:         50
        .size:           2
        .value_kind:     hidden_remainder_x
      - .offset:         52
        .size:           2
        .value_kind:     hidden_remainder_y
      - .offset:         54
        .size:           2
        .value_kind:     hidden_remainder_z
      - .offset:         72
        .size:           8
        .value_kind:     hidden_global_offset_x
      - .offset:         80
        .size:           8
        .value_kind:     hidden_global_offset_y
      - .offset:         88
        .size:           8
        .value_kind:     hidden_global_offset_z
      - .offset:         96
        .size:           2
        .value_kind:     hidden_grid_dims
    .group_segment_fixed_size: 0
    .kernarg_segment_align: 8
    .kernarg_segment_size: 288
    .language:       OpenCL C
    .language_version:
      - 2
      - 0
    .max_flat_workgroup_size: 256
    .name:           _Z6kernelI9broadcastN6common11custom_typeIddLb0EEELj64ELj100EEvPKT0_PS4_S4_
    .private_segment_fixed_size: 0
    .sgpr_count:     18
    .sgpr_spill_count: 0
    .symbol:         _Z6kernelI9broadcastN6common11custom_typeIddLb0EEELj64ELj100EEvPKT0_PS4_S4_.kd
    .uniform_work_group_size: 1
    .uses_dynamic_stack: false
    .vgpr_count:     10
    .vgpr_spill_count: 0
    .wavefront_size: 32
    .workgroup_processor_mode: 1
  - .args:
      - .address_space:  global
        .offset:         0
        .size:           8
        .value_kind:     global_buffer
      - .address_space:  global
        .offset:         8
        .size:           8
        .value_kind:     global_buffer
      - .offset:         16
        .size:           16
        .value_kind:     by_value
      - .offset:         32
        .size:           4
        .value_kind:     hidden_block_count_x
      - .offset:         36
        .size:           4
        .value_kind:     hidden_block_count_y
      - .offset:         40
        .size:           4
        .value_kind:     hidden_block_count_z
      - .offset:         44
        .size:           2
        .value_kind:     hidden_group_size_x
      - .offset:         46
        .size:           2
        .value_kind:     hidden_group_size_y
      - .offset:         48
        .size:           2
        .value_kind:     hidden_group_size_z
      - .offset:         50
        .size:           2
        .value_kind:     hidden_remainder_x
      - .offset:         52
        .size:           2
        .value_kind:     hidden_remainder_y
      - .offset:         54
        .size:           2
        .value_kind:     hidden_remainder_z
      - .offset:         72
        .size:           8
        .value_kind:     hidden_global_offset_x
      - .offset:         80
        .size:           8
        .value_kind:     hidden_global_offset_y
      - .offset:         88
        .size:           8
        .value_kind:     hidden_global_offset_z
      - .offset:         96
        .size:           2
        .value_kind:     hidden_grid_dims
    .group_segment_fixed_size: 0
    .kernarg_segment_align: 8
    .kernarg_segment_size: 288
    .language:       OpenCL C
    .language_version:
      - 2
      - 0
    .max_flat_workgroup_size: 256
    .name:           _Z6kernelI9broadcastN6common11custom_typeIddLb0EEELj32ELj100EEvPKT0_PS4_S4_
    .private_segment_fixed_size: 0
    .sgpr_count:     18
    .sgpr_spill_count: 0
    .symbol:         _Z6kernelI9broadcastN6common11custom_typeIddLb0EEELj32ELj100EEvPKT0_PS4_S4_.kd
    .uniform_work_group_size: 1
    .uses_dynamic_stack: false
    .vgpr_count:     8
    .vgpr_spill_count: 0
    .wavefront_size: 32
    .workgroup_processor_mode: 1
  - .args:
      - .address_space:  global
        .offset:         0
        .size:           8
        .value_kind:     global_buffer
      - .address_space:  global
        .offset:         8
        .size:           8
        .value_kind:     global_buffer
      - .offset:         16
        .size:           16
        .value_kind:     by_value
      - .offset:         32
        .size:           4
        .value_kind:     hidden_block_count_x
      - .offset:         36
        .size:           4
        .value_kind:     hidden_block_count_y
      - .offset:         40
        .size:           4
        .value_kind:     hidden_block_count_z
      - .offset:         44
        .size:           2
        .value_kind:     hidden_group_size_x
      - .offset:         46
        .size:           2
        .value_kind:     hidden_group_size_y
      - .offset:         48
        .size:           2
        .value_kind:     hidden_group_size_z
      - .offset:         50
        .size:           2
        .value_kind:     hidden_remainder_x
      - .offset:         52
        .size:           2
        .value_kind:     hidden_remainder_y
      - .offset:         54
        .size:           2
        .value_kind:     hidden_remainder_z
      - .offset:         72
        .size:           8
        .value_kind:     hidden_global_offset_x
      - .offset:         80
        .size:           8
        .value_kind:     hidden_global_offset_y
      - .offset:         88
        .size:           8
        .value_kind:     hidden_global_offset_z
      - .offset:         96
        .size:           2
        .value_kind:     hidden_grid_dims
    .group_segment_fixed_size: 0
    .kernarg_segment_align: 8
    .kernarg_segment_size: 288
    .language:       OpenCL C
    .language_version:
      - 2
      - 0
    .max_flat_workgroup_size: 256
    .name:           _Z6kernelI9broadcastN6common11custom_typeIddLb0EEELj16ELj100EEvPKT0_PS4_S4_
    .private_segment_fixed_size: 0
    .sgpr_count:     18
    .sgpr_spill_count: 0
    .symbol:         _Z6kernelI9broadcastN6common11custom_typeIddLb0EEELj16ELj100EEvPKT0_PS4_S4_.kd
    .uniform_work_group_size: 1
    .uses_dynamic_stack: false
    .vgpr_count:     8
    .vgpr_spill_count: 0
    .wavefront_size: 32
    .workgroup_processor_mode: 1
  - .args:
      - .address_space:  global
        .offset:         0
        .size:           8
        .value_kind:     global_buffer
      - .address_space:  global
        .offset:         8
        .size:           8
        .value_kind:     global_buffer
      - .offset:         16
        .size:           16
        .value_kind:     by_value
      - .offset:         32
        .size:           4
        .value_kind:     hidden_block_count_x
      - .offset:         36
        .size:           4
        .value_kind:     hidden_block_count_y
      - .offset:         40
        .size:           4
        .value_kind:     hidden_block_count_z
      - .offset:         44
        .size:           2
        .value_kind:     hidden_group_size_x
      - .offset:         46
        .size:           2
        .value_kind:     hidden_group_size_y
      - .offset:         48
        .size:           2
        .value_kind:     hidden_group_size_z
      - .offset:         50
        .size:           2
        .value_kind:     hidden_remainder_x
      - .offset:         52
        .size:           2
        .value_kind:     hidden_remainder_y
      - .offset:         54
        .size:           2
        .value_kind:     hidden_remainder_z
      - .offset:         72
        .size:           8
        .value_kind:     hidden_global_offset_x
      - .offset:         80
        .size:           8
        .value_kind:     hidden_global_offset_y
      - .offset:         88
        .size:           8
        .value_kind:     hidden_global_offset_z
      - .offset:         96
        .size:           2
        .value_kind:     hidden_grid_dims
    .group_segment_fixed_size: 0
    .kernarg_segment_align: 8
    .kernarg_segment_size: 288
    .language:       OpenCL C
    .language_version:
      - 2
      - 0
    .max_flat_workgroup_size: 256
    .name:           _Z6kernelI9broadcastN6common11custom_typeIidLb0EEELj64ELj100EEvPKT0_PS4_S4_
    .private_segment_fixed_size: 0
    .sgpr_count:     18
    .sgpr_spill_count: 0
    .symbol:         _Z6kernelI9broadcastN6common11custom_typeIidLb0EEELj64ELj100EEvPKT0_PS4_S4_.kd
    .uniform_work_group_size: 1
    .uses_dynamic_stack: false
    .vgpr_count:     6
    .vgpr_spill_count: 0
    .wavefront_size: 32
    .workgroup_processor_mode: 1
  - .args:
      - .address_space:  global
        .offset:         0
        .size:           8
        .value_kind:     global_buffer
      - .address_space:  global
        .offset:         8
        .size:           8
        .value_kind:     global_buffer
      - .offset:         16
        .size:           16
        .value_kind:     by_value
      - .offset:         32
        .size:           4
        .value_kind:     hidden_block_count_x
      - .offset:         36
        .size:           4
        .value_kind:     hidden_block_count_y
      - .offset:         40
        .size:           4
        .value_kind:     hidden_block_count_z
      - .offset:         44
        .size:           2
        .value_kind:     hidden_group_size_x
      - .offset:         46
        .size:           2
        .value_kind:     hidden_group_size_y
      - .offset:         48
        .size:           2
        .value_kind:     hidden_group_size_z
      - .offset:         50
        .size:           2
        .value_kind:     hidden_remainder_x
      - .offset:         52
        .size:           2
        .value_kind:     hidden_remainder_y
      - .offset:         54
        .size:           2
        .value_kind:     hidden_remainder_z
      - .offset:         72
        .size:           8
        .value_kind:     hidden_global_offset_x
      - .offset:         80
        .size:           8
        .value_kind:     hidden_global_offset_y
      - .offset:         88
        .size:           8
        .value_kind:     hidden_global_offset_z
      - .offset:         96
        .size:           2
        .value_kind:     hidden_grid_dims
    .group_segment_fixed_size: 0
    .kernarg_segment_align: 8
    .kernarg_segment_size: 288
    .language:       OpenCL C
    .language_version:
      - 2
      - 0
    .max_flat_workgroup_size: 256
    .name:           _Z6kernelI9broadcastN6common11custom_typeIidLb0EEELj32ELj100EEvPKT0_PS4_S4_
    .private_segment_fixed_size: 0
    .sgpr_count:     18
    .sgpr_spill_count: 0
    .symbol:         _Z6kernelI9broadcastN6common11custom_typeIidLb0EEELj32ELj100EEvPKT0_PS4_S4_.kd
    .uniform_work_group_size: 1
    .uses_dynamic_stack: false
    .vgpr_count:     6
    .vgpr_spill_count: 0
    .wavefront_size: 32
    .workgroup_processor_mode: 1
  - .args:
      - .address_space:  global
        .offset:         0
        .size:           8
        .value_kind:     global_buffer
      - .address_space:  global
        .offset:         8
        .size:           8
        .value_kind:     global_buffer
      - .offset:         16
        .size:           16
        .value_kind:     by_value
      - .offset:         32
        .size:           4
        .value_kind:     hidden_block_count_x
      - .offset:         36
        .size:           4
        .value_kind:     hidden_block_count_y
      - .offset:         40
        .size:           4
        .value_kind:     hidden_block_count_z
      - .offset:         44
        .size:           2
        .value_kind:     hidden_group_size_x
      - .offset:         46
        .size:           2
        .value_kind:     hidden_group_size_y
      - .offset:         48
        .size:           2
        .value_kind:     hidden_group_size_z
      - .offset:         50
        .size:           2
        .value_kind:     hidden_remainder_x
      - .offset:         52
        .size:           2
        .value_kind:     hidden_remainder_y
      - .offset:         54
        .size:           2
        .value_kind:     hidden_remainder_z
      - .offset:         72
        .size:           8
        .value_kind:     hidden_global_offset_x
      - .offset:         80
        .size:           8
        .value_kind:     hidden_global_offset_y
      - .offset:         88
        .size:           8
        .value_kind:     hidden_global_offset_z
      - .offset:         96
        .size:           2
        .value_kind:     hidden_grid_dims
    .group_segment_fixed_size: 0
    .kernarg_segment_align: 8
    .kernarg_segment_size: 288
    .language:       OpenCL C
    .language_version:
      - 2
      - 0
    .max_flat_workgroup_size: 256
    .name:           _Z6kernelI9broadcastN6common11custom_typeIidLb0EEELj16ELj100EEvPKT0_PS4_S4_
    .private_segment_fixed_size: 0
    .sgpr_count:     18
    .sgpr_spill_count: 0
    .symbol:         _Z6kernelI9broadcastN6common11custom_typeIidLb0EEELj16ELj100EEvPKT0_PS4_S4_.kd
    .uniform_work_group_size: 1
    .uses_dynamic_stack: false
    .vgpr_count:     7
    .vgpr_spill_count: 0
    .wavefront_size: 32
    .workgroup_processor_mode: 1
  - .args:
      - .address_space:  global
        .offset:         0
        .size:           8
        .value_kind:     global_buffer
      - .address_space:  global
        .offset:         8
        .size:           8
        .value_kind:     global_buffer
      - .offset:         16
        .size:           16
        .value_kind:     by_value
      - .offset:         32
        .size:           4
        .value_kind:     hidden_block_count_x
      - .offset:         36
        .size:           4
        .value_kind:     hidden_block_count_y
      - .offset:         40
        .size:           4
        .value_kind:     hidden_block_count_z
      - .offset:         44
        .size:           2
        .value_kind:     hidden_group_size_x
      - .offset:         46
        .size:           2
        .value_kind:     hidden_group_size_y
      - .offset:         48
        .size:           2
        .value_kind:     hidden_group_size_z
      - .offset:         50
        .size:           2
        .value_kind:     hidden_remainder_x
      - .offset:         52
        .size:           2
        .value_kind:     hidden_remainder_y
      - .offset:         54
        .size:           2
        .value_kind:     hidden_remainder_z
      - .offset:         72
        .size:           8
        .value_kind:     hidden_global_offset_x
      - .offset:         80
        .size:           8
        .value_kind:     hidden_global_offset_y
      - .offset:         88
        .size:           8
        .value_kind:     hidden_global_offset_z
      - .offset:         96
        .size:           2
        .value_kind:     hidden_grid_dims
    .group_segment_fixed_size: 0
    .kernarg_segment_align: 8
    .kernarg_segment_size: 288
    .language:       OpenCL C
    .language_version:
      - 2
      - 0
    .max_flat_workgroup_size: 256
    .name:           _Z6kernelI9broadcastnLj64ELj100EEvPKT0_PS1_S1_
    .private_segment_fixed_size: 0
    .sgpr_count:     18
    .sgpr_spill_count: 0
    .symbol:         _Z6kernelI9broadcastnLj64ELj100EEvPKT0_PS1_S1_.kd
    .uniform_work_group_size: 1
    .uses_dynamic_stack: false
    .vgpr_count:     8
    .vgpr_spill_count: 0
    .wavefront_size: 32
    .workgroup_processor_mode: 1
  - .args:
      - .address_space:  global
        .offset:         0
        .size:           8
        .value_kind:     global_buffer
      - .address_space:  global
        .offset:         8
        .size:           8
        .value_kind:     global_buffer
      - .offset:         16
        .size:           16
        .value_kind:     by_value
      - .offset:         32
        .size:           4
        .value_kind:     hidden_block_count_x
      - .offset:         36
        .size:           4
        .value_kind:     hidden_block_count_y
      - .offset:         40
        .size:           4
        .value_kind:     hidden_block_count_z
      - .offset:         44
        .size:           2
        .value_kind:     hidden_group_size_x
      - .offset:         46
        .size:           2
        .value_kind:     hidden_group_size_y
      - .offset:         48
        .size:           2
        .value_kind:     hidden_group_size_z
      - .offset:         50
        .size:           2
        .value_kind:     hidden_remainder_x
      - .offset:         52
        .size:           2
        .value_kind:     hidden_remainder_y
      - .offset:         54
        .size:           2
        .value_kind:     hidden_remainder_z
      - .offset:         72
        .size:           8
        .value_kind:     hidden_global_offset_x
      - .offset:         80
        .size:           8
        .value_kind:     hidden_global_offset_y
      - .offset:         88
        .size:           8
        .value_kind:     hidden_global_offset_z
      - .offset:         96
        .size:           2
        .value_kind:     hidden_grid_dims
    .group_segment_fixed_size: 0
    .kernarg_segment_align: 8
    .kernarg_segment_size: 288
    .language:       OpenCL C
    .language_version:
      - 2
      - 0
    .max_flat_workgroup_size: 256
    .name:           _Z6kernelI9broadcastnLj32ELj100EEvPKT0_PS1_S1_
    .private_segment_fixed_size: 0
    .sgpr_count:     18
    .sgpr_spill_count: 0
    .symbol:         _Z6kernelI9broadcastnLj32ELj100EEvPKT0_PS1_S1_.kd
    .uniform_work_group_size: 1
    .uses_dynamic_stack: false
    .vgpr_count:     8
    .vgpr_spill_count: 0
    .wavefront_size: 32
    .workgroup_processor_mode: 1
  - .args:
      - .address_space:  global
        .offset:         0
        .size:           8
        .value_kind:     global_buffer
      - .address_space:  global
        .offset:         8
        .size:           8
        .value_kind:     global_buffer
      - .offset:         16
        .size:           16
        .value_kind:     by_value
      - .offset:         32
        .size:           4
        .value_kind:     hidden_block_count_x
      - .offset:         36
        .size:           4
        .value_kind:     hidden_block_count_y
      - .offset:         40
        .size:           4
        .value_kind:     hidden_block_count_z
      - .offset:         44
        .size:           2
        .value_kind:     hidden_group_size_x
      - .offset:         46
        .size:           2
        .value_kind:     hidden_group_size_y
      - .offset:         48
        .size:           2
        .value_kind:     hidden_group_size_z
      - .offset:         50
        .size:           2
        .value_kind:     hidden_remainder_x
      - .offset:         52
        .size:           2
        .value_kind:     hidden_remainder_y
      - .offset:         54
        .size:           2
        .value_kind:     hidden_remainder_z
      - .offset:         72
        .size:           8
        .value_kind:     hidden_global_offset_x
      - .offset:         80
        .size:           8
        .value_kind:     hidden_global_offset_y
      - .offset:         88
        .size:           8
        .value_kind:     hidden_global_offset_z
      - .offset:         96
        .size:           2
        .value_kind:     hidden_grid_dims
    .group_segment_fixed_size: 0
    .kernarg_segment_align: 8
    .kernarg_segment_size: 288
    .language:       OpenCL C
    .language_version:
      - 2
      - 0
    .max_flat_workgroup_size: 256
    .name:           _Z6kernelI9broadcastnLj16ELj100EEvPKT0_PS1_S1_
    .private_segment_fixed_size: 0
    .sgpr_count:     18
    .sgpr_spill_count: 0
    .symbol:         _Z6kernelI9broadcastnLj16ELj100EEvPKT0_PS1_S1_.kd
    .uniform_work_group_size: 1
    .uses_dynamic_stack: false
    .vgpr_count:     8
    .vgpr_spill_count: 0
    .wavefront_size: 32
    .workgroup_processor_mode: 1
  - .args:
      - .address_space:  global
        .offset:         0
        .size:           8
        .value_kind:     global_buffer
      - .address_space:  global
        .offset:         8
        .size:           8
        .value_kind:     global_buffer
      - .offset:         16
        .size:           16
        .value_kind:     by_value
      - .offset:         32
        .size:           4
        .value_kind:     hidden_block_count_x
      - .offset:         36
        .size:           4
        .value_kind:     hidden_block_count_y
      - .offset:         40
        .size:           4
        .value_kind:     hidden_block_count_z
      - .offset:         44
        .size:           2
        .value_kind:     hidden_group_size_x
      - .offset:         46
        .size:           2
        .value_kind:     hidden_group_size_y
      - .offset:         48
        .size:           2
        .value_kind:     hidden_group_size_z
      - .offset:         50
        .size:           2
        .value_kind:     hidden_remainder_x
      - .offset:         52
        .size:           2
        .value_kind:     hidden_remainder_y
      - .offset:         54
        .size:           2
        .value_kind:     hidden_remainder_z
      - .offset:         72
        .size:           8
        .value_kind:     hidden_global_offset_x
      - .offset:         80
        .size:           8
        .value_kind:     hidden_global_offset_y
      - .offset:         88
        .size:           8
        .value_kind:     hidden_global_offset_z
      - .offset:         96
        .size:           2
        .value_kind:     hidden_grid_dims
    .group_segment_fixed_size: 0
    .kernarg_segment_align: 8
    .kernarg_segment_size: 288
    .language:       OpenCL C
    .language_version:
      - 2
      - 0
    .max_flat_workgroup_size: 256
    .name:           _Z6kernelI9broadcastoLj64ELj100EEvPKT0_PS1_S1_
    .private_segment_fixed_size: 0
    .sgpr_count:     18
    .sgpr_spill_count: 0
    .symbol:         _Z6kernelI9broadcastoLj64ELj100EEvPKT0_PS1_S1_.kd
    .uniform_work_group_size: 1
    .uses_dynamic_stack: false
    .vgpr_count:     8
    .vgpr_spill_count: 0
    .wavefront_size: 32
    .workgroup_processor_mode: 1
  - .args:
      - .address_space:  global
        .offset:         0
        .size:           8
        .value_kind:     global_buffer
      - .address_space:  global
        .offset:         8
        .size:           8
        .value_kind:     global_buffer
      - .offset:         16
        .size:           16
        .value_kind:     by_value
      - .offset:         32
        .size:           4
        .value_kind:     hidden_block_count_x
      - .offset:         36
        .size:           4
        .value_kind:     hidden_block_count_y
      - .offset:         40
        .size:           4
        .value_kind:     hidden_block_count_z
      - .offset:         44
        .size:           2
        .value_kind:     hidden_group_size_x
      - .offset:         46
        .size:           2
        .value_kind:     hidden_group_size_y
      - .offset:         48
        .size:           2
        .value_kind:     hidden_group_size_z
      - .offset:         50
        .size:           2
        .value_kind:     hidden_remainder_x
      - .offset:         52
        .size:           2
        .value_kind:     hidden_remainder_y
      - .offset:         54
        .size:           2
        .value_kind:     hidden_remainder_z
      - .offset:         72
        .size:           8
        .value_kind:     hidden_global_offset_x
      - .offset:         80
        .size:           8
        .value_kind:     hidden_global_offset_y
      - .offset:         88
        .size:           8
        .value_kind:     hidden_global_offset_z
      - .offset:         96
        .size:           2
        .value_kind:     hidden_grid_dims
    .group_segment_fixed_size: 0
    .kernarg_segment_align: 8
    .kernarg_segment_size: 288
    .language:       OpenCL C
    .language_version:
      - 2
      - 0
    .max_flat_workgroup_size: 256
    .name:           _Z6kernelI9broadcastoLj32ELj100EEvPKT0_PS1_S1_
    .private_segment_fixed_size: 0
    .sgpr_count:     18
    .sgpr_spill_count: 0
    .symbol:         _Z6kernelI9broadcastoLj32ELj100EEvPKT0_PS1_S1_.kd
    .uniform_work_group_size: 1
    .uses_dynamic_stack: false
    .vgpr_count:     8
    .vgpr_spill_count: 0
    .wavefront_size: 32
    .workgroup_processor_mode: 1
  - .args:
      - .address_space:  global
        .offset:         0
        .size:           8
        .value_kind:     global_buffer
      - .address_space:  global
        .offset:         8
        .size:           8
        .value_kind:     global_buffer
      - .offset:         16
        .size:           16
        .value_kind:     by_value
      - .offset:         32
        .size:           4
        .value_kind:     hidden_block_count_x
      - .offset:         36
        .size:           4
        .value_kind:     hidden_block_count_y
      - .offset:         40
        .size:           4
        .value_kind:     hidden_block_count_z
      - .offset:         44
        .size:           2
        .value_kind:     hidden_group_size_x
      - .offset:         46
        .size:           2
        .value_kind:     hidden_group_size_y
      - .offset:         48
        .size:           2
        .value_kind:     hidden_group_size_z
      - .offset:         50
        .size:           2
        .value_kind:     hidden_remainder_x
      - .offset:         52
        .size:           2
        .value_kind:     hidden_remainder_y
      - .offset:         54
        .size:           2
        .value_kind:     hidden_remainder_z
      - .offset:         72
        .size:           8
        .value_kind:     hidden_global_offset_x
      - .offset:         80
        .size:           8
        .value_kind:     hidden_global_offset_y
      - .offset:         88
        .size:           8
        .value_kind:     hidden_global_offset_z
      - .offset:         96
        .size:           2
        .value_kind:     hidden_grid_dims
    .group_segment_fixed_size: 0
    .kernarg_segment_align: 8
    .kernarg_segment_size: 288
    .language:       OpenCL C
    .language_version:
      - 2
      - 0
    .max_flat_workgroup_size: 256
    .name:           _Z6kernelI9broadcastoLj16ELj100EEvPKT0_PS1_S1_
    .private_segment_fixed_size: 0
    .sgpr_count:     18
    .sgpr_spill_count: 0
    .symbol:         _Z6kernelI9broadcastoLj16ELj100EEvPKT0_PS1_S1_.kd
    .uniform_work_group_size: 1
    .uses_dynamic_stack: false
    .vgpr_count:     8
    .vgpr_spill_count: 0
    .wavefront_size: 32
    .workgroup_processor_mode: 1
amdhsa.target:   amdgcn-amd-amdhsa--gfx1100
amdhsa.version:
  - 1
  - 2
...

	.end_amdgpu_metadata
